;; amdgpu-corpus repo=ROCm/rocFFT kind=compiled arch=gfx950 opt=O3
	.text
	.amdgcn_target "amdgcn-amd-amdhsa--gfx950"
	.amdhsa_code_object_version 6
	.protected	bluestein_single_fwd_len714_dim1_dp_op_CI_CI ; -- Begin function bluestein_single_fwd_len714_dim1_dp_op_CI_CI
	.globl	bluestein_single_fwd_len714_dim1_dp_op_CI_CI
	.p2align	8
	.type	bluestein_single_fwd_len714_dim1_dp_op_CI_CI,@function
bluestein_single_fwd_len714_dim1_dp_op_CI_CI: ; @bluestein_single_fwd_len714_dim1_dp_op_CI_CI
; %bb.0:
	s_load_dwordx4 s[4:7], s[0:1], 0x28
	v_mul_u32_u24_e32 v1, 0x506, v0
	v_mov_b32_e32 v111, 0
	v_add_u32_sdwa v6, s2, v1 dst_sel:DWORD dst_unused:UNUSED_PAD src0_sel:DWORD src1_sel:WORD_1
	v_mov_b32_e32 v7, v111
	s_waitcnt lgkmcnt(0)
	v_cmp_gt_u64_e32 vcc, s[4:5], v[6:7]
	s_and_saveexec_b64 s[2:3], vcc
	s_cbranch_execz .LBB0_23
; %bb.1:
	s_load_dwordx4 s[8:11], s[0:1], 0x18
	s_load_dwordx2 s[2:3], s[0:1], 0x0
	v_mov_b32_e32 v2, s6
	v_mov_b32_e32 v3, s7
	;; [unrolled: 1-line block ×3, first 2 shown]
	s_waitcnt lgkmcnt(0)
	s_load_dwordx4 s[4:7], s[8:9], 0x0
	v_mul_lo_u16_sdwa v1, v1, v4 dst_sel:DWORD dst_unused:UNUSED_PAD src0_sel:WORD_1 src1_sel:DWORD
	v_sub_u16_e32 v110, v0, v1
	v_accvgpr_write_b32 a48, v6
	v_lshlrev_b32_e32 v244, 4, v110
	s_waitcnt lgkmcnt(0)
	v_mad_u64_u32 v[0:1], s[8:9], s6, v6, 0
	v_mov_b32_e32 v4, v1
	v_mad_u64_u32 v[4:5], s[6:7], s7, v6, v[4:5]
	v_mov_b32_e32 v1, v4
	v_mad_u64_u32 v[4:5], s[6:7], s4, v110, 0
	v_mov_b32_e32 v6, v5
	v_mad_u64_u32 v[6:7], s[6:7], s5, v110, v[6:7]
	s_mul_i32 s6, s5, 0xee
	s_mul_hi_u32 s7, s4, 0xee
	v_mov_b32_e32 v5, v6
	v_lshl_add_u64 v[0:1], v[0:1], 4, v[2:3]
	v_mov_b32_e32 v245, v111
	s_add_i32 s7, s7, s6
	s_mul_i32 s6, s4, 0xee
	v_lshl_add_u64 v[0:1], v[4:5], 4, v[0:1]
	v_lshl_add_u64 v[108:109], s[2:3], 0, v[244:245]
	s_lshl_b64 s[12:13], s[6:7], 4
	s_movk_i32 s6, 0x1000
	global_load_dwordx4 v[72:75], v244, s[2:3]
	v_lshl_add_u64 v[2:3], v[0:1], 0, s[12:13]
	global_load_dwordx4 v[52:55], v[0:1], off
	global_load_dwordx4 v[48:51], v[2:3], off
	global_load_dwordx4 v[60:63], v244, s[2:3] offset:3808
	v_add_co_u32_e32 v0, vcc, s6, v108
	s_mul_hi_u32 s6, s4, 0xfffffe57
	s_mulk_i32 s5, 0xfe57
	s_sub_i32 s6, s6, s4
	s_add_i32 s15, s6, s5
	s_mul_i32 s14, s4, 0xfffffe57
	v_lshl_add_u64 v[2:3], v[2:3], 0, s[12:13]
	s_lshl_b64 s[4:5], s[14:15], 4
	global_load_dwordx4 v[56:59], v[2:3], off
	v_addc_co_u32_e32 v1, vcc, 0, v109, vcc
	v_lshl_add_u64 v[2:3], v[2:3], 0, s[4:5]
	global_load_dwordx4 v[64:67], v[0:1], off offset:3520
	global_load_dwordx4 v[88:91], v244, s[2:3] offset:816
	global_load_dwordx4 v[6:9], v[2:3], off
	v_lshl_add_u64 v[2:3], v[2:3], 0, s[12:13]
	s_movk_i32 s6, 0x2000
	global_load_dwordx4 v[10:13], v[2:3], off
	global_load_dwordx4 v[100:103], v[0:1], off offset:528
	v_lshl_add_u64 v[4:5], v[2:3], 0, s[12:13]
	v_add_co_u32_e32 v2, vcc, s6, v108
	global_load_dwordx4 v[14:17], v[4:5], off
	s_nop 0
	v_addc_co_u32_e32 v3, vcc, 0, v109, vcc
	global_load_dwordx4 v[104:107], v[2:3], off offset:240
	v_lshl_add_u64 v[4:5], v[4:5], 0, s[4:5]
	global_load_dwordx4 v[18:21], v[4:5], off
	global_load_dwordx4 v[80:83], v244, s[2:3] offset:1632
	v_lshl_add_u64 v[4:5], v[4:5], 0, s[12:13]
	global_load_dwordx4 v[22:25], v[4:5], off
	global_load_dwordx4 v[76:79], v[0:1], off offset:1344
	v_lshl_add_u64 v[4:5], v[4:5], 0, s[12:13]
	global_load_dwordx4 v[26:29], v[4:5], off
	global_load_dwordx4 v[68:71], v[2:3], off offset:1056
	v_lshl_add_u64 v[4:5], v[4:5], 0, s[4:5]
	global_load_dwordx4 v[30:33], v[4:5], off
	global_load_dwordx4 v[84:87], v244, s[2:3] offset:2448
	v_lshl_add_u64 v[4:5], v[4:5], 0, s[12:13]
	global_load_dwordx4 v[34:37], v[4:5], off
	global_load_dwordx4 v[92:95], v[0:1], off offset:2160
	v_lshl_add_u64 v[4:5], v[4:5], 0, s[12:13]
	global_load_dwordx4 v[96:99], v[2:3], off offset:1872
	global_load_dwordx4 v[38:41], v[4:5], off
	s_load_dwordx2 s[8:9], s[0:1], 0x38
	s_load_dwordx4 s[4:7], s[10:11], 0x0
	v_cmp_gt_u16_e32 vcc, 34, v110
	s_waitcnt vmcnt(23)
	v_accvgpr_write_b32 a16, v72
	s_waitcnt vmcnt(22)
	v_mul_f64 v[42:43], v[54:55], v[74:75]
	v_mul_f64 v[44:45], v[52:53], v[74:75]
	v_fmac_f64_e32 v[42:43], v[52:53], v[72:73]
	s_waitcnt vmcnt(20)
	v_mul_f64 v[46:47], v[50:51], v[62:63]
	v_mul_f64 v[52:53], v[48:49], v[62:63]
	v_fmac_f64_e32 v[46:47], v[48:49], v[60:61]
	v_fma_f64 v[48:49], v[50:51], v[60:61], -v[52:53]
	ds_write_b128 v244, v[46:49] offset:3808
	v_fma_f64 v[44:45], v[54:55], v[72:73], -v[44:45]
	ds_write_b128 v244, v[42:45]
	v_accvgpr_write_b32 a4, v60
	v_accvgpr_write_b32 a17, v73
	;; [unrolled: 1-line block ×5, first 2 shown]
	s_waitcnt vmcnt(18)
	v_mul_f64 v[42:43], v[58:59], v[66:67]
	s_waitcnt vmcnt(16)
	v_mul_f64 v[46:47], v[8:9], v[90:91]
	v_mul_f64 v[48:49], v[6:7], v[90:91]
	v_fmac_f64_e32 v[46:47], v[6:7], v[88:89]
	v_fma_f64 v[48:49], v[8:9], v[88:89], -v[48:49]
	s_waitcnt vmcnt(14)
	v_mul_f64 v[6:7], v[12:13], v[102:103]
	v_mul_f64 v[8:9], v[10:11], v[102:103]
	v_fmac_f64_e32 v[6:7], v[10:11], v[100:101]
	v_fma_f64 v[8:9], v[12:13], v[100:101], -v[8:9]
	ds_write_b128 v244, v[6:9] offset:4624
	v_mul_f64 v[44:45], v[56:57], v[66:67]
	s_waitcnt vmcnt(12)
	v_mul_f64 v[6:7], v[16:17], v[106:107]
	v_mul_f64 v[8:9], v[14:15], v[106:107]
	v_fmac_f64_e32 v[6:7], v[14:15], v[104:105]
	v_fma_f64 v[8:9], v[16:17], v[104:105], -v[8:9]
	ds_write_b128 v244, v[6:9] offset:8432
	s_waitcnt vmcnt(10)
	v_mul_f64 v[6:7], v[20:21], v[82:83]
	v_mul_f64 v[8:9], v[18:19], v[82:83]
	v_fmac_f64_e32 v[6:7], v[18:19], v[80:81]
	v_fma_f64 v[8:9], v[20:21], v[80:81], -v[8:9]
	ds_write_b128 v244, v[6:9] offset:1632
	;; [unrolled: 6-line block ×5, first 2 shown]
	s_waitcnt vmcnt(2)
	v_mul_f64 v[6:7], v[36:37], v[94:95]
	v_mul_f64 v[8:9], v[34:35], v[94:95]
	v_fmac_f64_e32 v[6:7], v[34:35], v[92:93]
	v_fma_f64 v[8:9], v[36:37], v[92:93], -v[8:9]
	v_accvgpr_write_b32 a8, v64
	v_accvgpr_write_b32 a32, v88
	;; [unrolled: 1-line block ×9, first 2 shown]
	ds_write_b128 v244, v[6:9] offset:6256
	s_waitcnt vmcnt(0)
	v_mul_f64 v[6:7], v[40:41], v[98:99]
	v_mul_f64 v[8:9], v[38:39], v[98:99]
	v_accvgpr_write_b32 a40, v96
	v_accvgpr_write_b32 a6, v62
	;; [unrolled: 1-line block ×3, first 2 shown]
	v_fmac_f64_e32 v[42:43], v[56:57], v[64:65]
	v_accvgpr_write_b32 a9, v65
	v_accvgpr_write_b32 a10, v66
	;; [unrolled: 1-line block ×3, first 2 shown]
	v_fma_f64 v[44:45], v[58:59], v[64:65], -v[44:45]
	v_accvgpr_write_b32 a33, v89
	v_accvgpr_write_b32 a34, v90
	;; [unrolled: 1-line block ×24, first 2 shown]
	v_fmac_f64_e32 v[6:7], v[38:39], v[96:97]
	v_accvgpr_write_b32 a41, v97
	v_accvgpr_write_b32 a42, v98
	;; [unrolled: 1-line block ×3, first 2 shown]
	v_fma_f64 v[8:9], v[40:41], v[96:97], -v[8:9]
	ds_write_b128 v244, v[42:45] offset:7616
	ds_write_b128 v244, v[46:49] offset:816
	;; [unrolled: 1-line block ×3, first 2 shown]
	s_and_saveexec_b64 s[10:11], vcc
	s_cbranch_execz .LBB0_3
; %bb.2:
	v_lshl_add_u64 v[16:17], s[14:15], 4, v[4:5]
	global_load_dwordx4 v[4:7], v[16:17], off
	global_load_dwordx4 v[8:11], v[108:109], off offset:3264
	global_load_dwordx4 v[12:15], v[0:1], off offset:2976
	v_lshl_add_u64 v[0:1], v[16:17], 0, s[12:13]
	global_load_dwordx4 v[16:19], v[0:1], off
	global_load_dwordx4 v[20:23], v[2:3], off offset:2688
	v_lshl_add_u64 v[0:1], v[0:1], 0, s[12:13]
	global_load_dwordx4 v[0:3], v[0:1], off
	s_waitcnt vmcnt(4)
	v_mul_f64 v[24:25], v[6:7], v[10:11]
	v_mul_f64 v[10:11], v[4:5], v[10:11]
	v_fmac_f64_e32 v[24:25], v[4:5], v[8:9]
	v_fma_f64 v[26:27], v[6:7], v[8:9], -v[10:11]
	s_waitcnt vmcnt(2)
	v_mul_f64 v[4:5], v[18:19], v[14:15]
	v_mul_f64 v[6:7], v[16:17], v[14:15]
	s_waitcnt vmcnt(0)
	v_mul_f64 v[8:9], v[2:3], v[22:23]
	v_mul_f64 v[10:11], v[0:1], v[22:23]
	v_fmac_f64_e32 v[4:5], v[16:17], v[12:13]
	v_fma_f64 v[6:7], v[18:19], v[12:13], -v[6:7]
	v_fmac_f64_e32 v[8:9], v[0:1], v[20:21]
	v_fma_f64 v[10:11], v[2:3], v[20:21], -v[10:11]
	ds_write_b128 v244, v[24:27] offset:3264
	ds_write_b128 v244, v[4:7] offset:7072
	;; [unrolled: 1-line block ×3, first 2 shown]
.LBB0_3:
	s_or_b64 exec, exec, s[10:11]
	s_waitcnt lgkmcnt(0)
	; wave barrier
	s_waitcnt lgkmcnt(0)
	ds_read_b128 v[112:115], v244
	ds_read_b128 v[116:119], v244 offset:816
	ds_read_b128 v[80:83], v244 offset:3808
	;; [unrolled: 1-line block ×11, first 2 shown]
                                        ; implicit-def: $vgpr132_vgpr133
                                        ; implicit-def: $vgpr48_vgpr49
                                        ; implicit-def: $vgpr60_vgpr61
	s_and_saveexec_b64 s[10:11], vcc
	s_cbranch_execz .LBB0_5
; %bb.4:
	ds_read_b128 v[132:135], v244 offset:3264
	ds_read_b128 v[48:51], v244 offset:7072
	;; [unrolled: 1-line block ×3, first 2 shown]
.LBB0_5:
	s_or_b64 exec, exec, s[10:11]
	s_load_dwordx2 s[10:11], s[0:1], 0x8
	s_mov_b64 s[0:1], 0xcc
	s_waitcnt lgkmcnt(0)
	v_add_f64 v[2:3], v[112:113], v[80:81]
	v_lshl_add_u64 v[0:1], v[110:111], 0, s[0:1]
	v_add_f64 v[120:121], v[2:3], v[84:85]
	v_add_f64 v[2:3], v[80:81], v[84:85]
	s_mov_b32 s0, 0xe8584caa
	v_fmac_f64_e32 v[112:113], -0.5, v[2:3]
	v_add_f64 v[2:3], v[82:83], -v[86:87]
	s_mov_b32 s1, 0x3febb67a
	s_mov_b32 s13, 0xbfebb67a
	s_mov_b32 s12, s0
	v_fma_f64 v[136:137], s[0:1], v[2:3], v[112:113]
	v_fmac_f64_e32 v[112:113], s[12:13], v[2:3]
	v_add_f64 v[2:3], v[114:115], v[82:83]
	v_add_f64 v[122:123], v[2:3], v[86:87]
	v_add_f64 v[2:3], v[82:83], v[86:87]
	v_fmac_f64_e32 v[114:115], -0.5, v[2:3]
	v_add_f64 v[2:3], v[80:81], -v[84:85]
	v_fma_f64 v[138:139], s[12:13], v[2:3], v[114:115]
	v_fmac_f64_e32 v[114:115], s[0:1], v[2:3]
	v_add_f64 v[2:3], v[116:117], v[72:73]
	v_add_f64 v[140:141], v[2:3], v[76:77]
	v_add_f64 v[2:3], v[72:73], v[76:77]
	v_fmac_f64_e32 v[116:117], -0.5, v[2:3]
	v_add_f64 v[2:3], v[74:75], -v[78:79]
	;; [unrolled: 7-line block ×7, first 2 shown]
	v_fma_f64 v[162:163], s[12:13], v[2:3], v[130:131]
	v_fmac_f64_e32 v[130:131], s[0:1], v[2:3]
	v_add_f64 v[2:3], v[132:133], v[48:49]
	v_add_f64 v[164:165], v[2:3], v[60:61]
	;; [unrolled: 1-line block ×3, first 2 shown]
	v_add_u32_e32 v4, 51, v110
	v_fmac_f64_e32 v[132:133], -0.5, v[2:3]
	v_add_f64 v[2:3], v[50:51], -v[62:63]
	v_mul_lo_u16_e32 v1, 3, v110
	v_add_u32_e32 v5, 0x66, v110
	v_fma_f64 v[168:169], s[0:1], v[2:3], v[132:133]
	v_fmac_f64_e32 v[132:133], s[12:13], v[2:3]
	v_add_f64 v[2:3], v[134:135], v[50:51]
	v_lshlrev_b32_e32 v248, 4, v1
	v_mul_u32_u24_e32 v1, 3, v4
	v_add_u32_e32 v6, 0x99, v110
	v_add_f64 v[166:167], v[2:3], v[62:63]
	v_add_f64 v[2:3], v[50:51], v[62:63]
	v_lshlrev_b32_e32 v249, 4, v1
	v_mul_u32_u24_e32 v1, 3, v5
	v_fmac_f64_e32 v[134:135], -0.5, v[2:3]
	v_add_f64 v[2:3], v[48:49], -v[60:61]
	v_lshlrev_b32_e32 v111, 4, v1
	v_mul_u32_u24_e32 v1, 3, v6
	v_fma_f64 v[170:171], s[12:13], v[2:3], v[134:135]
	v_fmac_f64_e32 v[134:135], s[0:1], v[2:3]
	v_lshlrev_b32_e32 v245, 4, v1
	v_mul_u32_u24_e32 v254, 3, v0
	s_waitcnt lgkmcnt(0)
	; wave barrier
	ds_write_b128 v248, v[120:123]
	ds_write_b128 v248, v[136:139] offset:16
	ds_write_b128 v248, v[112:115] offset:32
	ds_write_b128 v249, v[140:143]
	ds_write_b128 v249, v[144:147] offset:16
	ds_write_b128 v249, v[116:119] offset:32
	;; [unrolled: 3-line block ×4, first 2 shown]
	s_and_saveexec_b64 s[0:1], vcc
	s_cbranch_execz .LBB0_7
; %bb.6:
	v_lshlrev_b32_e32 v0, 4, v254
	ds_write_b128 v0, v[164:167]
	ds_write_b128 v0, v[168:171] offset:16
	ds_write_b128 v0, v[132:135] offset:32
.LBB0_7:
	s_or_b64 exec, exec, s[0:1]
	v_cmp_gt_u16_e64 s[0:1], 42, v110
	s_waitcnt lgkmcnt(0)
	; wave barrier
	s_waitcnt lgkmcnt(0)
                                        ; implicit-def: $vgpr172_vgpr173
                                        ; implicit-def: $vgpr176_vgpr177
	s_and_saveexec_b64 s[12:13], s[0:1]
	s_cbranch_execz .LBB0_9
; %bb.8:
	ds_read_b128 v[120:123], v244
	ds_read_b128 v[136:139], v244 offset:672
	ds_read_b128 v[112:115], v244 offset:1344
	;; [unrolled: 1-line block ×16, first 2 shown]
.LBB0_9:
	s_or_b64 exec, exec, s[12:13]
	s_movk_i32 s12, 0xab
	v_mul_lo_u16_sdwa v0, v110, s12 dst_sel:DWORD dst_unused:UNUSED_PAD src0_sel:BYTE_0 src1_sel:DWORD
	v_lshrrev_b16_e32 v0, 9, v0
	v_accvgpr_write_b32 a66, v0
	v_mul_lo_u16_e32 v0, 3, v0
	v_sub_u16_e32 v0, v110, v0
	v_and_b32_e32 v0, 0xff, v0
	v_accvgpr_write_b32 a49, v0
	v_lshlrev_b32_e32 v0, 8, v0
	global_load_dwordx4 v[32:35], v0, s[10:11]
	global_load_dwordx4 v[36:39], v0, s[10:11] offset:16
	global_load_dwordx4 v[40:43], v0, s[10:11] offset:32
	;; [unrolled: 1-line block ×15, first 2 shown]
	s_mov_b32 s28, 0x5d8e7cdc
	s_mov_b32 s12, 0x370991
	;; [unrolled: 1-line block ×44, first 2 shown]
	s_waitcnt lgkmcnt(0)
	; wave barrier
	s_waitcnt vmcnt(15) lgkmcnt(0)
	v_mul_f64 v[180:181], v[136:137], v[34:35]
	v_mul_f64 v[0:1], v[138:139], v[34:35]
	s_waitcnt vmcnt(14)
	v_mul_f64 v[182:183], v[112:113], v[38:39]
	v_fmac_f64_e32 v[180:181], v[138:139], v[32:33]
	v_mul_f64 v[2:3], v[114:115], v[38:39]
	s_waitcnt vmcnt(10)
	v_mul_f64 v[10:11], v[150:151], v[70:71]
	v_mul_f64 v[4:5], v[142:143], v[42:43]
	;; [unrolled: 1-line block ×3, first 2 shown]
	v_fma_f64 v[48:49], v[136:137], v[32:33], -v[0:1]
	s_waitcnt vmcnt(6)
	v_mul_f64 v[18:19], v[162:163], v[86:87]
	v_fmac_f64_e32 v[182:183], v[114:115], v[36:37]
	v_fma_f64 v[58:59], v[148:149], v[68:69], -v[10:11]
	v_mul_f64 v[184:185], v[140:141], v[42:43]
	s_waitcnt vmcnt(2)
	v_mul_f64 v[208:209], v[132:133], v[106:107]
	s_waitcnt vmcnt(1)
	;; [unrolled: 2-line block ×3, first 2 shown]
	v_mul_f64 v[216:217], v[176:177], v[94:95]
	v_mul_f64 v[30:31], v[178:179], v[94:95]
	v_fmac_f64_e32 v[216:217], v[178:179], v[92:93]
	v_mul_f64 v[28:29], v[174:175], v[98:99]
	v_fmac_f64_e32 v[212:213], v[174:175], v[96:97]
	v_fma_f64 v[148:149], v[176:177], v[92:93], -v[30:31]
	v_add_f64 v[10:11], v[180:181], -v[216:217]
	v_mul_f64 v[16:17], v[158:159], v[90:91]
	v_mul_f64 v[198:199], v[160:161], v[86:87]
	;; [unrolled: 1-line block ×5, first 2 shown]
	v_fma_f64 v[50:51], v[112:113], v[36:37], -v[2:3]
	v_fma_f64 v[52:53], v[140:141], v[40:41], -v[4:5]
	v_fmac_f64_e32 v[190:191], v[150:151], v[68:69]
	v_fma_f64 v[140:141], v[160:161], v[84:85], -v[18:19]
	v_fmac_f64_e32 v[208:209], v[134:135], v[104:105]
	v_fma_f64 v[134:135], v[172:173], v[96:97], -v[28:29]
	v_add_f64 v[246:247], v[48:49], v[148:149]
	v_mul_f64 v[150:151], v[10:11], s[28:29]
	v_add_f64 v[160:161], v[182:183], -v[212:213]
	v_mul_f64 v[196:197], v[156:157], v[90:91]
	v_mul_f64 v[20:21], v[130:131], v[82:83]
	;; [unrolled: 1-line block ×3, first 2 shown]
	v_fma_f64 v[138:139], v[156:157], v[88:89], -v[16:17]
	v_fmac_f64_e32 v[200:201], v[130:131], v[80:81]
	v_fma_f64 v[130:131], v[164:165], v[60:61], -v[22:23]
	v_fma_f64 v[0:1], s[12:13], v[246:247], v[150:151]
	v_add_f64 v[236:237], v[50:51], v[134:135]
	v_mul_f64 v[156:157], v[160:161], s[24:25]
	v_add_f64 v[164:165], v[48:49], -v[148:149]
	v_mul_f64 v[186:187], v[144:145], v[46:47]
	v_fmac_f64_e32 v[184:185], v[142:143], v[40:41]
	v_fmac_f64_e32 v[196:197], v[158:159], v[88:89]
	v_add_f64 v[0:1], v[120:121], v[0:1]
	v_fma_f64 v[2:3], s[16:17], v[236:237], v[156:157]
	v_add_f64 v[242:243], v[180:181], v[216:217]
	v_mul_f64 v[158:159], v[164:165], s[28:29]
	v_add_f64 v[18:19], v[50:51], -v[134:135]
	v_mul_f64 v[6:7], v[146:147], v[46:47]
	v_fmac_f64_e32 v[186:187], v[146:147], v[44:45]
	v_fmac_f64_e32 v[198:199], v[162:163], v[84:85]
	v_fma_f64 v[146:147], v[132:133], v[104:105], -v[26:27]
	v_add_f64 v[0:1], v[2:3], v[0:1]
	v_fma_f64 v[2:3], v[242:243], s[12:13], -v[158:159]
	v_add_f64 v[240:241], v[182:183], v[212:213]
	v_mul_f64 v[178:179], v[18:19], s[24:25]
	v_add_f64 v[162:163], v[184:185], -v[208:209]
	v_mul_f64 v[204:205], v[168:169], v[102:103]
	v_fmac_f64_e32 v[202:203], v[166:167], v[60:61]
	v_add_f64 v[2:3], v[122:123], v[2:3]
	v_fma_f64 v[4:5], v[240:241], s[16:17], -v[178:179]
	v_add_f64 v[252:253], v[52:53], v[146:147]
	v_mul_f64 v[206:207], v[162:163], s[30:31]
	v_add_f64 v[166:167], v[52:53], -v[146:147]
	v_mul_f64 v[12:13], v[154:155], v[74:75]
	v_mul_f64 v[24:25], v[170:171], v[102:103]
	v_fmac_f64_e32 v[204:205], v[170:171], v[100:101]
	v_add_f64 v[2:3], v[4:5], v[2:3]
	v_fma_f64 v[4:5], s[14:15], v[252:253], v[206:207]
	v_add_f64 v[176:177], v[184:185], v[208:209]
	v_mul_f64 v[238:239], v[166:167], s[30:31]
	v_fma_f64 v[54:55], v[144:145], v[44:45], -v[6:7]
	v_fma_f64 v[136:137], v[152:153], v[72:73], -v[12:13]
	;; [unrolled: 1-line block ×3, first 2 shown]
	v_add_f64 v[0:1], v[4:5], v[0:1]
	v_fma_f64 v[4:5], v[176:177], s[14:15], -v[238:239]
	v_add_f64 v[12:13], v[186:187], -v[204:205]
	v_mul_f64 v[8:9], v[118:119], v[66:67]
	v_fma_f64 v[142:143], v[128:129], v[80:81], -v[20:21]
	v_add_f64 v[2:3], v[4:5], v[2:3]
	v_add_f64 v[4:5], v[54:55], v[144:145]
	v_mul_f64 v[250:251], v[12:13], s[38:39]
	v_add_f64 v[128:129], v[54:55], -v[144:145]
	v_mul_f64 v[188:189], v[116:117], v[66:67]
	v_fma_f64 v[56:57], v[116:117], v[64:65], -v[8:9]
	v_fma_f64 v[6:7], s[18:19], v[4:5], v[250:251]
	v_mul_f64 v[8:9], v[128:129], s[38:39]
	v_fmac_f64_e32 v[188:189], v[118:119], v[64:65]
	v_add_f64 v[0:1], v[6:7], v[0:1]
	v_add_f64 v[6:7], v[186:187], v[204:205]
	v_accvgpr_write_b32 a71, v9
	v_accvgpr_write_b32 a70, v8
	v_fma_f64 v[8:9], v[6:7], s[18:19], -v[8:9]
	v_add_f64 v[214:215], v[188:189], -v[202:203]
	v_mul_f64 v[14:15], v[126:127], v[78:79]
	v_add_f64 v[2:3], v[8:9], v[2:3]
	v_mul_f64 v[8:9], v[214:215], s[42:43]
	v_mul_f64 v[194:195], v[124:125], v[78:79]
	v_fma_f64 v[124:125], v[124:125], v[76:77], -v[14:15]
	v_add_f64 v[14:15], v[56:57], v[130:131]
	v_accvgpr_write_b32 a73, v9
	v_accvgpr_write_b32 a72, v8
	v_fma_f64 v[8:9], s[22:23], v[14:15], v[8:9]
	v_add_f64 v[210:211], v[56:57], -v[130:131]
	v_add_f64 v[0:1], v[8:9], v[0:1]
	v_mul_f64 v[8:9], v[210:211], s[42:43]
	v_add_f64 v[16:17], v[188:189], v[202:203]
	v_accvgpr_write_b32 a75, v9
	v_accvgpr_write_b32 a74, v8
	v_fma_f64 v[8:9], v[16:17], s[22:23], -v[8:9]
	v_add_f64 v[222:223], v[190:191], -v[200:201]
	v_add_f64 v[2:3], v[8:9], v[2:3]
	v_mul_f64 v[8:9], v[222:223], s[44:45]
	v_add_f64 v[22:23], v[58:59], v[142:143]
	v_accvgpr_write_b32 a77, v9
	v_accvgpr_write_b32 a76, v8
	v_fma_f64 v[8:9], s[26:27], v[22:23], v[8:9]
	v_add_f64 v[218:219], v[58:59], -v[142:143]
	v_mul_f64 v[192:193], v[152:153], v[74:75]
	v_add_f64 v[0:1], v[8:9], v[0:1]
	v_mul_f64 v[8:9], v[218:219], s[44:45]
	v_fmac_f64_e32 v[192:193], v[154:155], v[72:73]
	v_add_f64 v[24:25], v[190:191], v[200:201]
	v_accvgpr_write_b32 a79, v9
	v_accvgpr_write_b32 a78, v8
	v_fma_f64 v[8:9], v[24:25], s[26:27], -v[8:9]
	v_add_f64 v[232:233], v[192:193], -v[198:199]
	v_add_f64 v[2:3], v[8:9], v[2:3]
	v_mul_f64 v[8:9], v[232:233], s[46:47]
	v_add_f64 v[30:31], v[136:137], v[140:141]
	v_accvgpr_write_b32 a81, v9
	v_accvgpr_write_b32 a80, v8
	v_fma_f64 v[8:9], s[34:35], v[30:31], v[8:9]
	v_add_f64 v[228:229], v[136:137], -v[140:141]
	v_accvgpr_write_b32 a0, v32
	v_add_f64 v[0:1], v[8:9], v[0:1]
	v_mul_f64 v[8:9], v[228:229], s[46:47]
	v_accvgpr_write_b32 a1, v33
	v_accvgpr_write_b32 a2, v34
	v_accvgpr_write_b32 a3, v35
	v_fmac_f64_e32 v[194:195], v[126:127], v[76:77]
	v_add_f64 v[34:35], v[192:193], v[198:199]
	v_accvgpr_write_b32 a83, v9
	v_accvgpr_write_b32 a82, v8
	v_fma_f64 v[8:9], v[34:35], s[34:35], -v[8:9]
	v_add_f64 v[20:21], v[194:195], -v[196:197]
	v_accvgpr_write_b32 a61, v43
	v_add_f64 v[2:3], v[8:9], v[2:3]
	v_mul_f64 v[8:9], v[20:21], s[48:49]
	v_accvgpr_write_b32 a60, v42
	v_accvgpr_write_b32 a59, v41
	;; [unrolled: 1-line block ×3, first 2 shown]
	v_add_f64 v[40:41], v[124:125], v[138:139]
	v_accvgpr_write_b32 a85, v9
	v_accvgpr_write_b32 a84, v8
	v_fma_f64 v[8:9], s[36:37], v[40:41], v[8:9]
	v_add_f64 v[174:175], v[124:125], -v[138:139]
	v_add_f64 v[112:113], v[8:9], v[0:1]
	v_mul_f64 v[0:1], v[174:175], s[48:49]
	v_add_f64 v[126:127], v[194:195], v[196:197]
	v_accvgpr_write_b32 a87, v1
	v_accvgpr_write_b32 a86, v0
	v_fma_f64 v[0:1], v[126:127], s[36:37], -v[0:1]
	v_add_f64 v[114:115], v[0:1], v[2:3]
	v_mul_f64 v[0:1], v[10:11], s[24:25]
	v_accvgpr_write_b32 a89, v1
	v_mul_f64 v[2:3], v[160:161], s[38:39]
	v_accvgpr_write_b32 a88, v0
	v_fma_f64 v[0:1], s[16:17], v[246:247], v[0:1]
	v_accvgpr_write_b32 a91, v3
	v_add_f64 v[0:1], v[120:121], v[0:1]
	v_accvgpr_write_b32 a90, v2
	v_fma_f64 v[2:3], s[18:19], v[236:237], v[2:3]
	v_add_f64 v[0:1], v[2:3], v[0:1]
	v_mul_f64 v[2:3], v[164:165], s[24:25]
	v_accvgpr_write_b32 a97, v3
	v_mul_f64 v[8:9], v[18:19], s[38:39]
	v_accvgpr_write_b32 a96, v2
	v_fma_f64 v[2:3], v[242:243], s[16:17], -v[2:3]
	v_accvgpr_write_b32 a99, v9
	v_add_f64 v[2:3], v[122:123], v[2:3]
	v_accvgpr_write_b32 a98, v8
	v_fma_f64 v[8:9], v[240:241], s[18:19], -v[8:9]
	v_add_f64 v[2:3], v[8:9], v[2:3]
	v_mul_f64 v[8:9], v[162:163], s[44:45]
	v_accvgpr_write_b32 a93, v9
	v_accvgpr_write_b32 a92, v8
	v_fma_f64 v[8:9], s[26:27], v[252:253], v[8:9]
	v_add_f64 v[0:1], v[8:9], v[0:1]
	v_mul_f64 v[8:9], v[166:167], s[44:45]
	v_accvgpr_write_b32 a103, v9
	v_accvgpr_write_b32 a102, v8
	v_fma_f64 v[8:9], v[176:177], s[26:27], -v[8:9]
	v_add_f64 v[2:3], v[8:9], v[2:3]
	v_mul_f64 v[8:9], v[12:13], s[48:49]
	v_accvgpr_write_b32 a95, v9
	v_accvgpr_write_b32 a94, v8
	v_fma_f64 v[8:9], s[36:37], v[4:5], v[8:9]
	v_add_f64 v[0:1], v[8:9], v[0:1]
	v_mul_f64 v[8:9], v[128:129], s[48:49]
	v_accvgpr_write_b32 a107, v9
	;; [unrolled: 10-line block ×3, first 2 shown]
	v_accvgpr_write_b32 a112, v2
	v_fma_f64 v[26:27], v[16:17], s[34:35], -v[2:3]
	v_mul_f64 v[2:3], v[222:223], s[40:41]
	v_add_f64 v[26:27], v[26:27], v[8:9]
	v_fma_f64 v[8:9], s[22:23], v[22:23], v[2:3]
	v_add_f64 v[0:1], v[8:9], v[0:1]
	v_mul_f64 v[8:9], v[218:219], s[40:41]
	v_accvgpr_write_b32 a115, v9
	v_accvgpr_write_b32 a114, v8
	v_fma_f64 v[28:29], v[24:25], s[22:23], -v[8:9]
	v_mul_f64 v[8:9], v[232:233], s[58:59]
	v_add_f64 v[26:27], v[28:29], v[26:27]
	v_fma_f64 v[28:29], s[14:15], v[30:31], v[8:9]
	v_add_f64 v[0:1], v[28:29], v[0:1]
	v_mul_f64 v[28:29], v[228:229], s[58:59]
	v_accvgpr_write_b32 a117, v29
	v_accvgpr_write_b32 a116, v28
	v_fma_f64 v[28:29], v[34:35], s[14:15], -v[28:29]
	v_add_f64 v[26:27], v[28:29], v[26:27]
	v_mul_f64 v[28:29], v[20:21], s[54:55]
	v_accvgpr_write_b32 a111, v29
	v_accvgpr_write_b32 a110, v28
	v_fma_f64 v[28:29], s[12:13], v[40:41], v[28:29]
	v_add_f64 v[116:117], v[28:29], v[0:1]
	v_mul_f64 v[0:1], v[174:175], s[54:55]
	v_accvgpr_write_b32 a119, v1
	v_accvgpr_write_b32 a118, v0
	v_fma_f64 v[0:1], v[126:127], s[12:13], -v[0:1]
	v_mul_f64 v[220:221], v[10:11], s[30:31]
	v_add_f64 v[118:119], v[0:1], v[26:27]
	v_fma_f64 v[0:1], s[14:15], v[246:247], v[220:221]
	v_mul_f64 v[224:225], v[160:161], s[44:45]
	v_add_f64 v[0:1], v[120:121], v[0:1]
	v_fma_f64 v[26:27], s[26:27], v[236:237], v[224:225]
	v_mul_f64 v[172:173], v[164:165], s[30:31]
	v_add_f64 v[0:1], v[26:27], v[0:1]
	v_fma_f64 v[26:27], v[242:243], s[14:15], -v[172:173]
	v_mul_f64 v[28:29], v[18:19], s[44:45]
	v_add_f64 v[26:27], v[122:123], v[26:27]
	v_fma_f64 v[32:33], v[240:241], s[26:27], -v[28:29]
	v_mul_f64 v[226:227], v[162:163], s[52:53]
	v_add_f64 v[26:27], v[32:33], v[26:27]
	v_fma_f64 v[32:33], s[36:37], v[252:253], v[226:227]
	v_accvgpr_write_b32 a57, v39
	v_add_f64 v[0:1], v[32:33], v[0:1]
	v_mul_f64 v[32:33], v[166:167], s[52:53]
	v_accvgpr_write_b32 a56, v38
	v_accvgpr_write_b32 a55, v37
	;; [unrolled: 1-line block ×3, first 2 shown]
	v_fma_f64 v[36:37], v[176:177], s[36:37], -v[32:33]
	v_mul_f64 v[230:231], v[12:13], s[40:41]
	v_add_f64 v[26:27], v[36:37], v[26:27]
	v_fma_f64 v[36:37], s[22:23], v[4:5], v[230:231]
	v_add_f64 v[0:1], v[36:37], v[0:1]
	v_mul_f64 v[36:37], v[128:129], s[40:41]
	v_fma_f64 v[38:39], v[6:7], s[22:23], -v[36:37]
	v_mul_f64 v[234:235], v[214:215], s[56:57]
	v_add_f64 v[26:27], v[38:39], v[26:27]
	v_fma_f64 v[38:39], s[16:17], v[14:15], v[234:235]
	v_add_f64 v[0:1], v[38:39], v[0:1]
	v_mul_f64 v[38:39], v[210:211], s[56:57]
	v_fma_f64 v[42:43], v[16:17], s[16:17], -v[38:39]
	v_mul_f64 v[168:169], v[222:223], s[28:29]
	v_add_f64 v[26:27], v[42:43], v[26:27]
	v_fma_f64 v[42:43], s[12:13], v[22:23], v[168:169]
	v_accvgpr_write_b32 a65, v47
	v_add_f64 v[0:1], v[42:43], v[0:1]
	v_mul_f64 v[42:43], v[218:219], s[28:29]
	v_accvgpr_write_b32 a64, v46
	v_accvgpr_write_b32 a63, v45
	;; [unrolled: 1-line block ×3, first 2 shown]
	v_fma_f64 v[44:45], v[24:25], s[12:13], -v[42:43]
	v_mul_f64 v[170:171], v[232:233], s[38:39]
	v_add_f64 v[26:27], v[44:45], v[26:27]
	v_fma_f64 v[44:45], s[18:19], v[30:31], v[170:171]
	v_add_f64 v[0:1], v[44:45], v[0:1]
	v_mul_f64 v[44:45], v[228:229], s[38:39]
	v_fma_f64 v[46:47], v[34:35], s[18:19], -v[44:45]
	v_add_f64 v[132:133], v[46:47], v[26:27]
	v_mul_f64 v[26:27], v[20:21], s[46:47]
	v_fma_f64 v[46:47], s[34:35], v[40:41], v[26:27]
	v_add_f64 v[152:153], v[46:47], v[0:1]
	v_mul_f64 v[46:47], v[174:175], s[46:47]
	v_fma_f64 v[0:1], v[126:127], s[34:35], -v[46:47]
	v_add_f64 v[154:155], v[0:1], v[132:133]
	v_mov_b32_e32 v1, 0
	s_and_saveexec_b64 s[20:21], s[0:1]
	s_cbranch_execz .LBB0_11
; %bb.10:
	v_accvgpr_write_b32 a120, v138
	v_accvgpr_write_b32 a104, v134
	;; [unrolled: 1-line block ×3, first 2 shown]
	v_mul_f64 v[138:139], v[242:243], s[36:37]
	v_accvgpr_write_b32 a122, v140
	v_accvgpr_write_b32 a105, v135
	v_mul_f64 v[134:135], v[240:241], s[12:13]
	v_accvgpr_write_b32 a108, v136
	v_accvgpr_write_b32 a123, v141
	v_fma_f64 v[140:141], s[52:53], v[164:165], v[138:139]
	v_mul_f64 v[132:133], v[176:177], s[34:35]
	v_accvgpr_write_b32 a109, v137
	v_fma_f64 v[136:137], s[28:29], v[18:19], v[134:135]
	v_add_f64 v[140:141], v[122:123], v[140:141]
	v_add_f64 v[136:137], v[136:137], v[140:141]
	v_fma_f64 v[140:141], s[50:51], v[166:167], v[132:133]
	v_add_f64 v[136:137], v[140:141], v[136:137]
	v_mul_f64 v[140:141], v[6:7], s[16:17]
	v_accvgpr_write_b32 a132, v142
	v_accvgpr_write_b32 a133, v143
	v_fma_f64 v[142:143], s[24:25], v[128:129], v[140:141]
	v_add_f64 v[136:137], v[142:143], v[136:137]
	s_mov_b32 s61, 0x3fe9895b
	s_mov_b32 s60, s44
	v_mul_f64 v[142:143], v[16:17], s[26:27]
	v_accvgpr_write_b32 a134, v144
	v_accvgpr_write_b32 a135, v145
	v_fma_f64 v[144:145], s[60:61], v[210:211], v[142:143]
	v_add_f64 v[136:137], v[144:145], v[136:137]
	v_mul_f64 v[144:145], v[24:25], s[14:15]
	v_accvgpr_write_b32 a136, v146
	v_accvgpr_write_b32 a137, v147
	v_fma_f64 v[146:147], s[30:31], v[218:219], v[144:145]
	v_add_f64 v[136:137], v[146:147], v[136:137]
	;; [unrolled: 5-line block ×3, first 2 shown]
	v_mul_f64 v[148:149], v[10:11], s[48:49]
	v_accvgpr_write_b32 a142, v150
	v_accvgpr_write_b32 a144, v156
	;; [unrolled: 1-line block ×3, first 2 shown]
	v_fma_f64 v[150:151], s[36:37], v[246:247], v[148:149]
	v_accvgpr_write_b32 a145, v157
	v_mul_f64 v[156:157], v[160:161], s[54:55]
	v_accvgpr_write_b32 a146, v158
	v_add_f64 v[150:151], v[120:121], v[150:151]
	v_accvgpr_write_b32 a147, v159
	v_fma_f64 v[158:159], s[12:13], v[236:237], v[156:157]
	v_add_f64 v[150:151], v[158:159], v[150:151]
	v_mul_f64 v[158:159], v[162:163], s[46:47]
	v_accvgpr_write_b32 a141, v125
	v_accvgpr_write_b32 a140, v124
	v_fma_f64 v[124:125], s[34:35], v[252:253], v[158:159]
	v_add_f64 v[124:125], v[124:125], v[150:151]
	v_mul_f64 v[150:151], v[12:13], s[56:57]
	v_accvgpr_write_b32 a148, v178
	;; [unrolled: 5-line block ×3, first 2 shown]
	v_accvgpr_write_b32 a151, v239
	v_fma_f64 v[238:239], s[26:27], v[14:15], v[178:179]
	v_add_f64 v[124:125], v[238:239], v[124:125]
	v_mul_f64 v[238:239], v[222:223], s[58:59]
	v_mov_b32_e32 v0, v254
	v_fma_f64 v[254:255], s[14:15], v[22:23], v[238:239]
	v_add_f64 v[124:125], v[254:255], v[124:125]
	v_mul_f64 v[254:255], v[232:233], s[42:43]
	v_accvgpr_write_b32 a153, v3
	v_accvgpr_write_b32 a152, v2
	v_fma_f64 v[2:3], s[22:23], v[30:31], v[254:255]
	v_add_f64 v[2:3], v[2:3], v[124:125]
	v_mul_f64 v[124:125], v[126:127], s[18:19]
	v_accvgpr_write_b32 a163, v9
	v_accvgpr_write_b32 a162, v8
	v_fma_f64 v[8:9], s[38:39], v[174:175], v[124:125]
	v_accvgpr_write_b32 a131, v67
	s_mov_b32 s63, 0x3fefdd0d
	s_mov_b32 s62, s38
	v_accvgpr_write_b32 a130, v66
	v_accvgpr_write_b32 a129, v65
	;; [unrolled: 1-line block ×3, first 2 shown]
	v_add_f64 v[66:67], v[8:9], v[136:137]
	v_mul_f64 v[8:9], v[20:21], s[62:63]
	v_fma_f64 v[136:137], s[18:19], v[40:41], v[8:9]
	v_fmac_f64_e32 v[138:139], s[48:49], v[164:165]
	v_add_f64 v[64:65], v[136:137], v[2:3]
	v_fmac_f64_e32 v[134:135], s[54:55], v[18:19]
	v_add_f64 v[2:3], v[122:123], v[138:139]
	v_add_f64 v[2:3], v[134:135], v[2:3]
	v_fmac_f64_e32 v[132:133], s[46:47], v[166:167]
	v_fma_f64 v[134:135], v[246:247], s[36:37], -v[148:149]
	v_add_f64 v[2:3], v[132:133], v[2:3]
	v_fma_f64 v[132:133], v[236:237], s[12:13], -v[156:157]
	v_add_f64 v[134:135], v[120:121], v[134:135]
	v_fmac_f64_e32 v[140:141], s[56:57], v[128:129]
	v_add_f64 v[132:133], v[132:133], v[134:135]
	v_fma_f64 v[134:135], v[252:253], s[34:35], -v[158:159]
	v_add_f64 v[2:3], v[140:141], v[2:3]
	v_fmac_f64_e32 v[142:143], s[44:45], v[210:211]
	;; [unrolled: 4-line block ×4, first 2 shown]
	v_add_f64 v[132:133], v[134:135], v[132:133]
	v_fma_f64 v[134:135], v[22:23], s[14:15], -v[238:239]
	v_add_f64 v[2:3], v[146:147], v[2:3]
	v_add_f64 v[132:133], v[134:135], v[132:133]
	v_fma_f64 v[134:135], v[30:31], s[22:23], -v[254:255]
	v_fmac_f64_e32 v[124:125], s[62:63], v[174:175]
	v_accvgpr_write_b32 a127, v67
	v_add_f64 v[132:133], v[134:135], v[132:133]
	v_add_f64 v[134:135], v[124:125], v[2:3]
	v_fma_f64 v[2:3], v[40:41], s[18:19], -v[8:9]
	v_accvgpr_write_b32 a126, v66
	v_accvgpr_write_b32 a125, v65
	;; [unrolled: 1-line block ×3, first 2 shown]
	v_accvgpr_read_b32 v64, a128
	v_add_f64 v[132:133], v[2:3], v[132:133]
	v_mul_f64 v[2:3], v[242:243], s[34:35]
	v_accvgpr_read_b32 v65, a129
	v_accvgpr_read_b32 v66, a130
	;; [unrolled: 1-line block ×3, first 2 shown]
	v_accvgpr_write_b32 a128, v132
	v_fma_f64 v[8:9], s[50:51], v[164:165], v[2:3]
	v_mul_f64 v[124:125], v[240:241], s[14:15]
	v_accvgpr_write_b32 a129, v133
	v_accvgpr_write_b32 a130, v134
	;; [unrolled: 1-line block ×3, first 2 shown]
	v_add_f64 v[8:9], v[122:123], v[8:9]
	v_fma_f64 v[132:133], s[30:31], v[18:19], v[124:125]
	v_mul_f64 v[136:137], v[176:177], s[18:19]
	v_add_f64 v[8:9], v[132:133], v[8:9]
	v_fma_f64 v[132:133], s[62:63], v[166:167], v[136:137]
	v_mul_f64 v[138:139], v[6:7], s[26:27]
	;; [unrolled: 3-line block ×13, first 2 shown]
	v_add_f64 v[132:133], v[134:135], v[132:133]
	v_fma_f64 v[134:135], s[40:41], v[174:175], v[254:255]
	v_accvgpr_write_b32 a161, v115
	v_accvgpr_write_b32 a160, v114
	;; [unrolled: 1-line block ×4, first 2 shown]
	v_add_f64 v[114:115], v[134:135], v[8:9]
	v_mul_f64 v[8:9], v[20:21], s[42:43]
	v_fma_f64 v[134:135], s[22:23], v[40:41], v[8:9]
	v_fmac_f64_e32 v[2:3], s[46:47], v[164:165]
	v_add_f64 v[112:113], v[134:135], v[132:133]
	v_fmac_f64_e32 v[124:125], s[58:59], v[18:19]
	v_add_f64 v[2:3], v[122:123], v[2:3]
	v_fma_f64 v[132:133], v[246:247], s[34:35], -v[146:147]
	v_add_f64 v[2:3], v[124:125], v[2:3]
	v_fmac_f64_e32 v[136:137], s[38:39], v[166:167]
	v_fma_f64 v[124:125], v[236:237], s[14:15], -v[148:149]
	v_add_f64 v[132:133], v[120:121], v[132:133]
	v_add_f64 v[2:3], v[136:137], v[2:3]
	v_fmac_f64_e32 v[138:139], s[60:61], v[128:129]
	v_add_f64 v[124:125], v[124:125], v[132:133]
	v_fma_f64 v[132:133], v[252:253], s[18:19], -v[150:151]
	v_add_f64 v[2:3], v[138:139], v[2:3]
	v_fmac_f64_e32 v[140:141], s[28:29], v[210:211]
	v_add_f64 v[124:125], v[132:133], v[124:125]
	v_fma_f64 v[132:133], v[4:5], s[26:27], -v[156:157]
	;; [unrolled: 4-line block ×4, first 2 shown]
	v_add_f64 v[2:3], v[144:145], v[2:3]
	v_add_f64 v[124:125], v[132:133], v[124:125]
	v_fma_f64 v[132:133], v[30:31], s[16:17], -v[238:239]
	v_fmac_f64_e32 v[254:255], s[42:43], v[174:175]
	v_add_f64 v[124:125], v[132:133], v[124:125]
	v_add_f64 v[138:139], v[254:255], v[2:3]
	v_fma_f64 v[2:3], v[40:41], s[22:23], -v[8:9]
	v_add_f64 v[136:137], v[2:3], v[124:125]
	v_mul_f64 v[2:3], v[242:243], s[26:27]
	v_fma_f64 v[8:9], s[60:61], v[164:165], v[2:3]
	v_mul_f64 v[124:125], v[240:241], s[22:23]
	v_add_f64 v[8:9], v[122:123], v[8:9]
	v_fma_f64 v[132:133], s[42:43], v[18:19], v[124:125]
	v_add_f64 v[8:9], v[132:133], v[8:9]
	v_mul_f64 v[132:133], v[176:177], s[12:13]
	v_fma_f64 v[134:135], s[54:55], v[166:167], v[132:133]
	v_add_f64 v[8:9], v[134:135], v[8:9]
	v_mul_f64 v[134:135], v[6:7], s[34:35]
	v_fma_f64 v[140:141], s[50:51], v[128:129], v[134:135]
	v_mul_f64 v[144:145], v[16:17], s[18:19]
	v_add_f64 v[8:9], v[140:141], v[8:9]
	v_fma_f64 v[140:141], s[38:39], v[210:211], v[144:145]
	v_mul_f64 v[146:147], v[24:25], s[16:17]
	v_add_f64 v[8:9], v[140:141], v[8:9]
	;; [unrolled: 3-line block ×5, first 2 shown]
	v_fma_f64 v[142:143], s[22:23], v[236:237], v[156:157]
	v_mul_f64 v[158:159], v[162:163], s[28:29]
	v_accvgpr_write_b32 a157, v115
	v_add_f64 v[140:141], v[142:143], v[140:141]
	v_fma_f64 v[142:143], s[12:13], v[252:253], v[158:159]
	v_mul_f64 v[178:179], v[12:13], s[46:47]
	v_accvgpr_write_b32 a156, v114
	v_accvgpr_write_b32 a155, v113
	;; [unrolled: 1-line block ×3, first 2 shown]
	v_accvgpr_read_b32 v112, a158
	v_add_f64 v[140:141], v[142:143], v[140:141]
	v_fma_f64 v[142:143], s[34:35], v[4:5], v[178:179]
	v_mul_f64 v[238:239], v[214:215], s[62:63]
	v_accvgpr_read_b32 v113, a159
	v_accvgpr_read_b32 v114, a160
	;; [unrolled: 1-line block ×3, first 2 shown]
	v_add_f64 v[140:141], v[142:143], v[140:141]
	v_fma_f64 v[142:143], s[18:19], v[14:15], v[238:239]
	v_mul_f64 v[254:255], v[222:223], s[24:25]
	v_accvgpr_write_b32 a159, v131
	v_add_f64 v[140:141], v[142:143], v[140:141]
	v_fma_f64 v[142:143], s[16:17], v[22:23], v[254:255]
	v_accvgpr_write_b32 a158, v130
	v_mul_f64 v[130:131], v[232:233], s[48:49]
	v_accvgpr_write_b32 a160, v206
	v_add_f64 v[140:141], v[142:143], v[140:141]
	v_fma_f64 v[142:143], s[36:37], v[30:31], v[130:131]
	v_accvgpr_write_b32 a161, v207
	v_mul_f64 v[206:207], v[126:127], s[14:15]
	v_add_f64 v[140:141], v[142:143], v[140:141]
	v_fma_f64 v[142:143], s[30:31], v[174:175], v[206:207]
	v_add_f64 v[142:143], v[142:143], v[8:9]
	v_mul_f64 v[8:9], v[20:21], s[58:59]
	v_fmac_f64_e32 v[2:3], s[44:45], v[164:165]
	v_accvgpr_write_b32 a165, v51
	v_accvgpr_write_b32 a67, v248
	;; [unrolled: 1-line block ×3, first 2 shown]
	v_mov_b64_e32 v[248:249], v[48:49]
	v_fma_f64 v[48:49], s[14:15], v[40:41], v[8:9]
	v_fmac_f64_e32 v[124:125], s[40:41], v[18:19]
	v_add_f64 v[2:3], v[122:123], v[2:3]
	v_accvgpr_write_b32 a164, v50
	v_fma_f64 v[50:51], v[246:247], s[26:27], -v[150:151]
	v_add_f64 v[140:141], v[48:49], v[140:141]
	v_add_f64 v[2:3], v[124:125], v[2:3]
	v_fmac_f64_e32 v[132:133], s[28:29], v[166:167]
	v_fma_f64 v[48:49], v[236:237], s[22:23], -v[156:157]
	v_add_f64 v[50:51], v[120:121], v[50:51]
	v_add_f64 v[2:3], v[132:133], v[2:3]
	v_fmac_f64_e32 v[134:135], s[46:47], v[128:129]
	v_add_f64 v[48:49], v[48:49], v[50:51]
	v_fma_f64 v[50:51], v[252:253], s[12:13], -v[158:159]
	v_add_f64 v[2:3], v[134:135], v[2:3]
	v_fmac_f64_e32 v[144:145], s[62:63], v[210:211]
	v_add_f64 v[48:49], v[50:51], v[48:49]
	v_fma_f64 v[50:51], v[4:5], s[34:35], -v[178:179]
	;; [unrolled: 4-line block ×4, first 2 shown]
	v_add_f64 v[2:3], v[148:149], v[2:3]
	v_add_f64 v[48:49], v[50:51], v[48:49]
	v_fma_f64 v[50:51], v[30:31], s[36:37], -v[130:131]
	v_fmac_f64_e32 v[206:207], s[58:59], v[174:175]
	v_add_f64 v[48:49], v[50:51], v[48:49]
	v_add_f64 v[146:147], v[206:207], v[2:3]
	v_fma_f64 v[2:3], v[40:41], s[14:15], -v[8:9]
	v_add_f64 v[144:145], v[2:3], v[48:49]
	v_mul_f64 v[2:3], v[242:243], s[22:23]
	v_fma_f64 v[8:9], s[40:41], v[164:165], v[2:3]
	v_mul_f64 v[48:49], v[240:241], s[34:35]
	v_add_f64 v[8:9], v[122:123], v[8:9]
	v_fma_f64 v[50:51], s[46:47], v[18:19], v[48:49]
	v_add_f64 v[8:9], v[50:51], v[8:9]
	v_mul_f64 v[50:51], v[176:177], s[16:17]
	v_fma_f64 v[124:125], s[24:25], v[166:167], v[50:51]
	v_add_f64 v[8:9], v[124:125], v[8:9]
	v_mul_f64 v[124:125], v[6:7], s[14:15]
	;; [unrolled: 3-line block ×4, first 2 shown]
	v_fma_f64 v[134:135], s[38:39], v[218:219], v[132:133]
	v_fmac_f64_e32 v[2:3], s[42:43], v[164:165]
	v_add_f64 v[8:9], v[134:135], v[8:9]
	v_mul_f64 v[134:135], v[34:35], s[12:13]
	v_fmac_f64_e32 v[48:49], s[50:51], v[18:19]
	v_add_f64 v[2:3], v[122:123], v[2:3]
	v_fma_f64 v[148:149], s[54:55], v[228:229], v[134:135]
	v_mul_f64 v[156:157], v[10:11], s[42:43]
	v_add_f64 v[2:3], v[48:49], v[2:3]
	v_fmac_f64_e32 v[50:51], s[56:57], v[166:167]
	v_add_f64 v[8:9], v[148:149], v[8:9]
	v_fma_f64 v[148:149], s[22:23], v[246:247], v[156:157]
	v_mul_f64 v[158:159], v[160:161], s[50:51]
	v_add_f64 v[2:3], v[50:51], v[2:3]
	v_fma_f64 v[50:51], v[246:247], s[22:23], -v[156:157]
	v_add_f64 v[148:149], v[120:121], v[148:149]
	v_fma_f64 v[150:151], s[34:35], v[236:237], v[158:159]
	v_mul_f64 v[178:179], v[162:163], s[56:57]
	v_fma_f64 v[48:49], v[236:237], s[34:35], -v[158:159]
	v_add_f64 v[50:51], v[120:121], v[50:51]
	v_add_f64 v[148:149], v[150:151], v[148:149]
	v_fma_f64 v[150:151], s[16:17], v[252:253], v[178:179]
	v_mul_f64 v[206:207], v[12:13], s[30:31]
	v_fmac_f64_e32 v[124:125], s[30:31], v[128:129]
	v_add_f64 v[48:49], v[48:49], v[50:51]
	v_fma_f64 v[50:51], v[252:253], s[16:17], -v[178:179]
	v_add_f64 v[148:149], v[150:151], v[148:149]
	v_fma_f64 v[150:151], s[14:15], v[4:5], v[206:207]
	v_mul_f64 v[238:239], v[214:215], s[48:49]
	v_accvgpr_write_b32 a171, v57
	v_add_f64 v[2:3], v[124:125], v[2:3]
	v_fmac_f64_e32 v[130:131], s[48:49], v[210:211]
	v_add_f64 v[48:49], v[50:51], v[48:49]
	v_fma_f64 v[50:51], v[4:5], s[14:15], -v[206:207]
	v_add_f64 v[148:149], v[150:151], v[148:149]
	v_fma_f64 v[150:151], s[36:37], v[14:15], v[238:239]
	v_mul_f64 v[254:255], v[222:223], s[62:63]
	v_accvgpr_write_b32 a167, v53
	v_accvgpr_write_b32 a170, v56
	v_mul_f64 v[56:57], v[126:127], s[26:27]
	v_accvgpr_write_b32 a173, v59
	v_add_f64 v[2:3], v[130:131], v[2:3]
	v_fmac_f64_e32 v[132:133], s[62:63], v[218:219]
	v_add_f64 v[48:49], v[50:51], v[48:49]
	v_fma_f64 v[50:51], v[14:15], s[36:37], -v[238:239]
	v_add_f64 v[148:149], v[150:151], v[148:149]
	v_fma_f64 v[150:151], s[18:19], v[22:23], v[254:255]
	v_accvgpr_write_b32 a166, v52
	v_mul_f64 v[52:53], v[232:233], s[28:29]
	v_accvgpr_write_b32 a172, v58
	v_fma_f64 v[58:59], s[60:61], v[174:175], v[56:57]
	v_add_f64 v[2:3], v[132:133], v[2:3]
	v_fmac_f64_e32 v[134:135], s[28:29], v[228:229]
	v_add_f64 v[48:49], v[50:51], v[48:49]
	v_fma_f64 v[50:51], v[22:23], s[18:19], -v[254:255]
	v_add_f64 v[148:149], v[150:151], v[148:149]
	v_add_f64 v[150:151], v[58:59], v[8:9]
	v_mul_f64 v[8:9], v[20:21], s[44:45]
	v_add_f64 v[2:3], v[134:135], v[2:3]
	v_add_f64 v[48:49], v[50:51], v[48:49]
	v_fma_f64 v[50:51], v[30:31], s[12:13], -v[52:53]
	v_fmac_f64_e32 v[56:57], s[44:45], v[174:175]
	v_add_f64 v[48:49], v[50:51], v[48:49]
	v_add_f64 v[158:159], v[56:57], v[2:3]
	v_fma_f64 v[2:3], v[40:41], s[26:27], -v[8:9]
	v_add_f64 v[156:157], v[2:3], v[48:49]
	v_mul_f64 v[2:3], v[242:243], s[18:19]
	v_fma_f64 v[58:59], s[26:27], v[40:41], v[8:9]
	v_fma_f64 v[8:9], s[62:63], v[164:165], v[2:3]
	v_mul_f64 v[48:49], v[240:241], s[36:37]
	v_add_f64 v[8:9], v[122:123], v[8:9]
	v_fma_f64 v[50:51], s[52:53], v[18:19], v[48:49]
	v_accvgpr_write_b32 a169, v55
	v_add_f64 v[8:9], v[50:51], v[8:9]
	v_mul_f64 v[50:51], v[176:177], s[22:23]
	v_accvgpr_write_b32 a168, v54
	v_fma_f64 v[54:55], s[12:13], v[30:31], v[52:53]
	v_fma_f64 v[52:53], s[42:43], v[166:167], v[50:51]
	v_add_f64 v[54:55], v[54:55], v[148:149]
	v_add_f64 v[8:9], v[52:53], v[8:9]
	v_mul_f64 v[52:53], v[6:7], s[12:13]
	v_add_f64 v[148:149], v[58:59], v[54:55]
	v_fma_f64 v[54:55], s[28:29], v[128:129], v[52:53]
	v_add_f64 v[8:9], v[54:55], v[8:9]
	v_mul_f64 v[54:55], v[16:17], s[14:15]
	v_fma_f64 v[56:57], s[58:59], v[210:211], v[54:55]
	v_add_f64 v[8:9], v[56:57], v[8:9]
	v_mul_f64 v[56:57], v[24:25], s[34:35]
	;; [unrolled: 3-line block ×3, first 2 shown]
	v_fma_f64 v[124:125], s[44:45], v[228:229], v[58:59]
	v_mul_f64 v[10:11], v[10:11], s[38:39]
	v_add_f64 v[8:9], v[124:125], v[8:9]
	v_mul_f64 v[124:125], v[160:161], s[48:49]
	v_fma_f64 v[130:131], s[18:19], v[246:247], v[10:11]
	v_add_f64 v[130:131], v[120:121], v[130:131]
	v_fma_f64 v[132:133], s[36:37], v[236:237], v[124:125]
	v_add_f64 v[130:131], v[132:133], v[130:131]
	v_mul_f64 v[132:133], v[162:163], s[40:41]
	v_fma_f64 v[134:135], s[22:23], v[252:253], v[132:133]
	v_mul_f64 v[12:13], v[12:13], s[54:55]
	v_add_f64 v[130:131], v[134:135], v[130:131]
	v_fma_f64 v[134:135], s[12:13], v[4:5], v[12:13]
	v_add_f64 v[130:131], v[134:135], v[130:131]
	v_mul_f64 v[134:135], v[214:215], s[30:31]
	v_fma_f64 v[160:161], s[14:15], v[14:15], v[134:135]
	v_mul_f64 v[178:179], v[222:223], s[46:47]
	v_add_f64 v[130:131], v[160:161], v[130:131]
	v_fma_f64 v[160:161], s[34:35], v[22:23], v[178:179]
	v_mul_f64 v[206:207], v[232:233], s[60:61]
	v_fmac_f64_e32 v[2:3], s[38:39], v[164:165]
	v_add_f64 v[130:131], v[160:161], v[130:131]
	v_fma_f64 v[160:161], s[26:27], v[30:31], v[206:207]
	v_mul_f64 v[214:215], v[126:127], s[16:17]
	v_fmac_f64_e32 v[48:49], s[48:49], v[18:19]
	v_add_f64 v[2:3], v[122:123], v[2:3]
	v_fma_f64 v[10:11], v[246:247], s[18:19], -v[10:11]
	v_add_f64 v[130:131], v[160:161], v[130:131]
	v_fma_f64 v[160:161], s[24:25], v[174:175], v[214:215]
	v_fmac_f64_e32 v[50:51], s[40:41], v[166:167]
	v_add_f64 v[2:3], v[48:49], v[2:3]
	v_fma_f64 v[18:19], v[236:237], s[36:37], -v[124:125]
	v_add_f64 v[10:11], v[120:121], v[10:11]
	v_add_f64 v[162:163], v[160:161], v[8:9]
	v_mul_f64 v[8:9], v[20:21], s[56:57]
	v_fmac_f64_e32 v[52:53], s[54:55], v[128:129]
	v_add_f64 v[2:3], v[50:51], v[2:3]
	v_add_f64 v[10:11], v[18:19], v[10:11]
	v_fma_f64 v[18:19], v[252:253], s[22:23], -v[132:133]
	v_fma_f64 v[20:21], s[16:17], v[40:41], v[8:9]
	v_fmac_f64_e32 v[54:55], s[30:31], v[210:211]
	v_add_f64 v[2:3], v[52:53], v[2:3]
	v_add_f64 v[10:11], v[18:19], v[10:11]
	v_fma_f64 v[12:13], v[4:5], s[12:13], -v[12:13]
	v_add_f64 v[160:161], v[20:21], v[130:131]
	v_fmac_f64_e32 v[56:57], s[46:47], v[218:219]
	v_add_f64 v[2:3], v[54:55], v[2:3]
	v_add_f64 v[10:11], v[12:13], v[10:11]
	v_fma_f64 v[12:13], v[14:15], s[14:15], -v[134:135]
	v_mul_f64 v[20:21], v[176:177], s[36:37]
	v_fmac_f64_e32 v[58:59], s[60:61], v[228:229]
	v_add_f64 v[2:3], v[56:57], v[2:3]
	v_add_f64 v[10:11], v[12:13], v[10:11]
	v_fma_f64 v[12:13], v[22:23], s[34:35], -v[178:179]
	v_add_f64 v[20:21], v[32:33], v[20:21]
	v_mul_f64 v[32:33], v[240:241], s[26:27]
	v_fmac_f64_e32 v[214:215], s[56:57], v[174:175]
	v_add_f64 v[2:3], v[58:59], v[2:3]
	v_add_f64 v[10:11], v[12:13], v[10:11]
	v_fma_f64 v[12:13], v[30:31], s[26:27], -v[206:207]
	v_add_f64 v[28:29], v[28:29], v[32:33]
	v_mul_f64 v[32:33], v[242:243], s[14:15]
	v_add_f64 v[10:11], v[12:13], v[10:11]
	v_add_f64 v[166:167], v[214:215], v[2:3]
	v_fma_f64 v[2:3], v[40:41], s[16:17], -v[8:9]
	v_add_f64 v[32:33], v[172:173], v[32:33]
	v_add_f64 v[164:165], v[2:3], v[10:11]
	v_mul_f64 v[10:11], v[24:25], s[12:13]
	v_add_f64 v[32:33], v[122:123], v[32:33]
	v_mul_f64 v[2:3], v[126:127], s[34:35]
	;; [unrolled: 2-line block ×5, first 2 shown]
	v_add_f64 v[18:19], v[36:37], v[18:19]
	v_add_f64 v[20:21], v[20:21], v[28:29]
	v_mul_f64 v[46:47], v[236:237], s[26:27]
	v_add_f64 v[42:43], v[42:43], -v[220:221]
	v_add_f64 v[12:13], v[38:39], v[12:13]
	v_add_f64 v[18:19], v[18:19], v[20:21]
	v_mul_f64 v[54:55], v[252:253], s[36:37]
	v_add_f64 v[46:47], v[46:47], -v[224:225]
	v_add_f64 v[42:43], v[120:121], v[42:43]
	v_mul_f64 v[8:9], v[34:35], s[18:19]
	v_add_f64 v[12:13], v[12:13], v[18:19]
	v_mul_f64 v[52:53], v[4:5], s[22:23]
	v_add_f64 v[54:55], v[54:55], -v[226:227]
	v_add_f64 v[42:43], v[46:47], v[42:43]
	v_add_f64 v[8:9], v[44:45], v[8:9]
	;; [unrolled: 1-line block ×3, first 2 shown]
	v_mul_f64 v[50:51], v[14:15], s[16:17]
	v_add_f64 v[52:53], v[52:53], -v[230:231]
	v_mul_f64 v[130:131], v[4:5], s[18:19]
	v_mul_f64 v[132:133], v[4:5], s[36:37]
	v_add_f64 v[4:5], v[54:55], v[42:43]
	v_add_f64 v[8:9], v[8:9], v[10:11]
	v_mul_f64 v[10:11], v[40:41], s[34:35]
	v_mul_f64 v[48:49], v[22:23], s[12:13]
	v_add_f64 v[50:51], v[50:51], -v[234:235]
	v_add_f64 v[4:5], v[52:53], v[4:5]
	v_add_f64 v[10:11], v[10:11], -v[26:27]
	v_mul_f64 v[26:27], v[30:31], s[18:19]
	v_add_f64 v[48:49], v[48:49], -v[168:169]
	v_add_f64 v[4:5], v[50:51], v[4:5]
	v_add_f64 v[26:27], v[26:27], -v[170:171]
	v_add_f64 v[4:5], v[48:49], v[4:5]
	v_mul_f64 v[46:47], v[6:7], s[18:19]
	v_mul_f64 v[134:135], v[6:7], s[36:37]
	v_add_f64 v[4:5], v[26:27], v[4:5]
	v_mul_f64 v[26:27], v[30:31], s[34:35]
	v_add_f64 v[6:7], v[2:3], v[8:9]
	v_mul_f64 v[8:9], v[30:31], s[14:15]
	v_mul_f64 v[30:31], v[126:127], s[12:13]
	;; [unrolled: 1-line block ×3, first 2 shown]
	v_accvgpr_read_b32 v127, a117
	v_add_f64 v[4:5], v[10:11], v[4:5]
	v_mul_f64 v[10:11], v[34:35], s[14:15]
	v_accvgpr_read_b32 v126, a116
	v_add_f64 v[10:11], v[126:127], v[10:11]
	v_accvgpr_read_b32 v127, a115
	v_mul_f64 v[48:49], v[24:25], s[26:27]
	v_mul_f64 v[24:25], v[24:25], s[22:23]
	v_accvgpr_read_b32 v126, a114
	v_add_f64 v[24:25], v[126:127], v[24:25]
	v_accvgpr_read_b32 v127, a113
	v_mul_f64 v[52:53], v[16:17], s[22:23]
	v_mul_f64 v[16:17], v[16:17], s[34:35]
	v_accvgpr_read_b32 v126, a112
	v_add_f64 v[16:17], v[126:127], v[16:17]
	v_accvgpr_read_b32 v127, a107
	v_accvgpr_read_b32 v126, a106
	v_add_f64 v[126:127], v[126:127], v[134:135]
	v_accvgpr_read_b32 v135, a103
	v_mul_f64 v[128:129], v[176:177], s[26:27]
	v_accvgpr_read_b32 v134, a102
	v_add_f64 v[128:129], v[134:135], v[128:129]
	v_accvgpr_read_b32 v135, a99
	v_mul_f64 v[44:45], v[240:241], s[18:19]
	;; [unrolled: 4-line block ×3, first 2 shown]
	v_accvgpr_read_b32 v134, a96
	v_add_f64 v[38:39], v[134:135], v[38:39]
	v_add_f64 v[38:39], v[122:123], v[38:39]
	;; [unrolled: 1-line block ×7, first 2 shown]
	v_accvgpr_read_b32 v24, a162
	v_accvgpr_read_b32 v25, a163
	v_accvgpr_read_b32 v38, a90
	v_mul_f64 v[12:13], v[236:237], s[18:19]
	v_mul_f64 v[2:3], v[34:35], s[34:35]
	v_accvgpr_read_b32 v34, a118
	v_add_f64 v[8:9], v[8:9], -v[24:25]
	v_accvgpr_read_b32 v24, a152
	v_accvgpr_read_b32 v39, a91
	v_mul_f64 v[50:51], v[22:23], s[26:27]
	v_mul_f64 v[22:23], v[22:23], s[22:23]
	v_accvgpr_read_b32 v35, a119
	v_accvgpr_read_b32 v25, a153
	v_add_f64 v[12:13], v[12:13], -v[38:39]
	v_accvgpr_read_b32 v38, a88
	v_mul_f64 v[28:29], v[246:247], s[16:17]
	v_add_f64 v[30:31], v[34:35], v[30:31]
	v_add_f64 v[10:11], v[10:11], v[16:17]
	v_add_f64 v[22:23], v[22:23], -v[24:25]
	v_accvgpr_read_b32 v24, a100
	v_accvgpr_read_b32 v39, a89
	v_mul_f64 v[42:43], v[14:15], s[22:23]
	v_mul_f64 v[14:15], v[14:15], s[34:35]
	v_add_f64 v[10:11], v[30:31], v[10:11]
	v_accvgpr_read_b32 v25, a101
	v_accvgpr_read_b32 v30, a92
	v_add_f64 v[28:29], v[28:29], -v[38:39]
	v_mul_f64 v[124:125], v[252:253], s[26:27]
	v_add_f64 v[14:15], v[14:15], -v[24:25]
	v_accvgpr_read_b32 v24, a94
	v_accvgpr_read_b32 v31, a93
	v_add_f64 v[28:29], v[120:121], v[28:29]
	v_accvgpr_read_b32 v25, a95
	v_add_f64 v[30:31], v[124:125], -v[30:31]
	v_add_f64 v[12:13], v[12:13], v[28:29]
	v_accvgpr_read_b32 v28, a148
	v_mul_f64 v[18:19], v[240:241], s[16:17]
	v_add_f64 v[24:25], v[132:133], -v[24:25]
	v_add_f64 v[12:13], v[30:31], v[12:13]
	v_accvgpr_read_b32 v29, a149
	v_add_f64 v[12:13], v[24:25], v[12:13]
	v_add_f64 v[18:19], v[28:29], v[18:19]
	v_accvgpr_read_b32 v28, a146
	v_mul_f64 v[32:33], v[242:243], s[12:13]
	v_accvgpr_read_b32 v16, a110
	v_add_f64 v[12:13], v[14:15], v[12:13]
	v_accvgpr_read_b32 v29, a147
	v_mul_f64 v[34:35], v[40:41], s[36:37]
	v_mul_f64 v[40:41], v[40:41], s[12:13]
	v_accvgpr_read_b32 v17, a111
	v_add_f64 v[12:13], v[22:23], v[12:13]
	v_accvgpr_read_b32 v24, a150
	v_add_f64 v[28:29], v[28:29], v[32:33]
	v_mul_f64 v[58:59], v[176:177], s[14:15]
	v_add_f64 v[16:17], v[40:41], -v[16:17]
	v_add_f64 v[8:9], v[8:9], v[12:13]
	v_accvgpr_read_b32 v14, a82
	v_accvgpr_read_b32 v22, a70
	;; [unrolled: 1-line block ×3, first 2 shown]
	v_add_f64 v[28:29], v[122:123], v[28:29]
	v_add_f64 v[8:9], v[16:17], v[8:9]
	v_accvgpr_read_b32 v15, a83
	v_accvgpr_read_b32 v16, a74
	;; [unrolled: 1-line block ×3, first 2 shown]
	v_add_f64 v[24:25], v[24:25], v[58:59]
	v_add_f64 v[18:19], v[18:19], v[28:29]
	;; [unrolled: 1-line block ×3, first 2 shown]
	v_accvgpr_read_b32 v14, a78
	v_accvgpr_read_b32 v17, a75
	v_add_f64 v[22:23], v[22:23], v[46:47]
	v_add_f64 v[18:19], v[24:25], v[18:19]
	v_accvgpr_read_b32 v15, a79
	v_add_f64 v[16:17], v[16:17], v[52:53]
	v_add_f64 v[18:19], v[22:23], v[18:19]
	;; [unrolled: 3-line block ×4, first 2 shown]
	v_add_f64 v[2:3], v[2:3], v[14:15]
	v_add_f64 v[14:15], v[12:13], v[2:3]
	v_accvgpr_read_b32 v12, a80
	v_accvgpr_read_b32 v13, a81
	v_add_f64 v[12:13], v[26:27], -v[12:13]
	v_accvgpr_read_b32 v26, a144
	v_mul_f64 v[20:21], v[236:237], s[16:17]
	v_accvgpr_read_b32 v27, a145
	v_add_f64 v[20:21], v[20:21], -v[26:27]
	v_accvgpr_read_b32 v26, a142
	v_mul_f64 v[36:37], v[246:247], s[12:13]
	v_accvgpr_read_b32 v27, a143
	v_accvgpr_read_b32 v24, a160
	v_add_f64 v[26:27], v[36:37], -v[26:27]
	v_mul_f64 v[56:57], v[252:253], s[14:15]
	v_accvgpr_read_b32 v25, a161
	v_add_f64 v[26:27], v[120:121], v[26:27]
	v_accvgpr_read_b32 v18, a72
	v_add_f64 v[24:25], v[56:57], -v[24:25]
	v_add_f64 v[20:21], v[20:21], v[26:27]
	v_accvgpr_read_b32 v16, a76
	v_accvgpr_read_b32 v19, a73
	v_add_f64 v[22:23], v[130:131], -v[250:251]
	v_add_f64 v[20:21], v[24:25], v[20:21]
	v_accvgpr_read_b32 v17, a77
	v_add_f64 v[18:19], v[42:43], -v[18:19]
	v_add_f64 v[20:21], v[22:23], v[20:21]
	;; [unrolled: 3-line block ×3, first 2 shown]
	v_accvgpr_read_b32 v3, a85
	v_add_f64 v[16:17], v[16:17], v[18:19]
	v_add_f64 v[2:3], v[34:35], -v[2:3]
	v_add_f64 v[12:13], v[12:13], v[16:17]
	v_add_f64 v[12:13], v[2:3], v[12:13]
	;; [unrolled: 1-line block ×17, first 2 shown]
	v_accvgpr_read_b32 v16, a164
	v_add_f64 v[18:19], v[2:3], v[216:217]
	v_add_f64 v[2:3], v[120:121], v[248:249]
	v_accvgpr_read_b32 v17, a165
	v_add_f64 v[2:3], v[2:3], v[16:17]
	v_accvgpr_read_b32 v16, a166
	v_accvgpr_read_b32 v17, a167
	v_add_f64 v[2:3], v[2:3], v[16:17]
	v_accvgpr_read_b32 v16, a168
	;; [unrolled: 3-line block ×14, first 2 shown]
	v_mov_b32_e32 v254, v0
	v_accvgpr_read_b32 v17, a139
	v_accvgpr_read_b32 v0, a66
	v_add_f64 v[16:17], v[2:3], v[16:17]
	v_mul_u32_u24_e32 v0, 51, v0
	v_accvgpr_read_b32 v2, a49
	v_accvgpr_read_b32 v249, a68
	;; [unrolled: 1-line block ×3, first 2 shown]
	v_add_lshl_u32 v0, v0, v2, 4
	ds_write_b128 v0, v[16:19]
	ds_write_b128 v0, v[12:15] offset:48
	ds_write_b128 v0, v[8:11] offset:96
	;; [unrolled: 1-line block ×16, first 2 shown]
.LBB0_11:
	s_or_b64 exec, exec, s[20:21]
	v_lshlrev_b32_e32 v0, 4, v110
	v_lshl_add_u64 v[208:209], s[2:3], 0, v[0:1]
	s_movk_i32 s2, 0x60
	v_mov_b64_e32 v[0:1], s[10:11]
	v_mad_u64_u32 v[0:1], s[2:3], v110, s2, v[0:1]
	s_waitcnt lgkmcnt(0)
	; wave barrier
	s_waitcnt lgkmcnt(0)
	ds_read_b128 v[148:151], v244
	ds_read_b128 v[4:7], v244 offset:1632
	ds_read_b128 v[8:11], v244 offset:3264
	;; [unrolled: 1-line block ×13, first 2 shown]
	global_load_dwordx4 v[120:123], v[0:1], off offset:816
	global_load_dwordx4 v[124:127], v[0:1], off offset:800
	;; [unrolled: 1-line block ×6, first 2 shown]
	s_mov_b32 s10, 0x37e14327
	s_mov_b32 s2, 0x36b3c0b5
	;; [unrolled: 1-line block ×20, first 2 shown]
	s_waitcnt lgkmcnt(0)
	; wave barrier
	s_waitcnt vmcnt(5) lgkmcnt(0)
	v_mul_f64 v[30:31], v[166:167], v[122:123]
	s_waitcnt vmcnt(4)
	v_mul_f64 v[26:27], v[170:171], v[126:127]
	s_waitcnt vmcnt(3)
	;; [unrolled: 2-line block ×3, first 2 shown]
	v_mul_f64 v[2:3], v[6:7], v[138:139]
	v_fma_f64 v[2:3], v[4:5], v[136:137], -v[2:3]
	v_mul_f64 v[4:5], v[4:5], v[138:139]
	v_fmac_f64_e32 v[4:5], v[6:7], v[136:137]
	v_mul_f64 v[6:7], v[10:11], v[130:131]
	v_fma_f64 v[6:7], v[8:9], v[128:129], -v[6:7]
	v_mul_f64 v[8:9], v[8:9], v[130:131]
	v_fmac_f64_e32 v[8:9], v[10:11], v[128:129]
	;; [unrolled: 4-line block ×4, first 2 shown]
	s_waitcnt vmcnt(0)
	v_mul_f64 v[18:19], v[186:187], v[142:143]
	v_fma_f64 v[36:37], v[184:185], v[140:141], -v[18:19]
	v_mul_f64 v[18:19], v[182:183], v[134:135]
	v_mul_f64 v[38:39], v[184:185], v[142:143]
	v_fma_f64 v[40:41], v[180:181], v[132:133], -v[18:19]
	v_mul_f64 v[42:43], v[180:181], v[134:135]
	v_fmac_f64_e32 v[38:39], v[186:187], v[140:141]
	v_fmac_f64_e32 v[42:43], v[182:183], v[132:133]
	v_add_f64 v[50:51], v[2:3], v[40:41]
	v_add_f64 v[2:3], v[2:3], -v[40:41]
	v_add_f64 v[40:41], v[6:7], v[36:37]
	v_add_f64 v[52:53], v[4:5], v[42:43]
	v_add_f64 v[4:5], v[4:5], -v[42:43]
	v_add_f64 v[42:43], v[8:9], v[38:39]
	v_add_f64 v[6:7], v[6:7], -v[36:37]
	;; [unrolled: 2-line block ×5, first 2 shown]
	v_add_f64 v[16:17], v[42:43], v[52:53]
	v_add_f64 v[14:15], v[36:37], v[14:15]
	v_mul_f64 v[44:45], v[160:161], v[142:143]
	v_add_f64 v[16:17], v[38:39], v[16:17]
	v_add_f64 v[148:149], v[148:149], v[14:15]
	v_mul_f64 v[34:35], v[162:163], v[142:143]
	v_fmac_f64_e32 v[44:45], v[162:163], v[140:141]
	v_mul_f64 v[46:47], v[158:159], v[134:135]
	v_mul_f64 v[48:49], v[156:157], v[134:135]
	v_add_f64 v[54:55], v[40:41], -v[50:51]
	v_add_f64 v[56:57], v[42:43], -v[52:53]
	v_add_f64 v[50:51], v[50:51], -v[36:37]
	v_add_f64 v[52:53], v[52:53], -v[38:39]
	v_add_f64 v[40:41], v[36:37], -v[40:41]
	v_add_f64 v[42:43], v[38:39], -v[42:43]
	v_add_f64 v[150:151], v[150:151], v[16:17]
	v_mov_b64_e32 v[162:163], v[148:149]
	v_mul_f64 v[18:19], v[178:179], v[138:139]
	v_fma_f64 v[34:35], v[160:161], v[140:141], -v[34:35]
	v_fma_f64 v[46:47], v[156:157], v[132:133], -v[46:47]
	v_fmac_f64_e32 v[48:49], v[158:159], v[132:133]
	v_add_f64 v[58:59], v[10:11], v[6:7]
	v_add_f64 v[156:157], v[12:13], v[8:9]
	v_add_f64 v[158:159], v[10:11], -v[6:7]
	v_add_f64 v[160:161], v[12:13], -v[8:9]
	v_add_f64 v[6:7], v[6:7], -v[2:3]
	v_add_f64 v[8:9], v[8:9], -v[4:5]
	v_mul_f64 v[36:37], v[50:51], s[10:11]
	v_mul_f64 v[38:39], v[52:53], s[10:11]
	;; [unrolled: 1-line block ×4, first 2 shown]
	v_fmac_f64_e32 v[162:163], s[16:17], v[14:15]
	v_mov_b64_e32 v[14:15], v[150:151]
	v_fma_f64 v[18:19], v[176:177], v[136:137], -v[18:19]
	v_mul_f64 v[20:21], v[176:177], v[138:139]
	v_fma_f64 v[22:23], v[172:173], v[128:129], -v[22:23]
	v_mul_f64 v[24:25], v[172:173], v[130:131]
	v_add_f64 v[10:11], v[2:3], -v[10:11]
	v_add_f64 v[12:13], v[4:5], -v[12:13]
	v_add_f64 v[2:3], v[58:59], v[2:3]
	v_add_f64 v[4:5], v[156:157], v[4:5]
	v_mul_f64 v[58:59], v[158:159], s[14:15]
	v_mul_f64 v[156:157], v[160:161], s[14:15]
	;; [unrolled: 1-line block ×4, first 2 shown]
	v_fmac_f64_e32 v[14:15], s[16:17], v[16:17]
	v_fma_f64 v[16:17], v[54:55], s[18:19], -v[50:51]
	v_fma_f64 v[50:51], v[56:57], s[18:19], -v[52:53]
	;; [unrolled: 1-line block ×3, first 2 shown]
	v_fmac_f64_e32 v[36:37], s[2:3], v[40:41]
	v_fmac_f64_e32 v[20:21], v[178:179], v[136:137]
	;; [unrolled: 1-line block ×3, first 2 shown]
	v_fma_f64 v[26:27], v[168:169], v[124:125], -v[26:27]
	v_mul_f64 v[28:29], v[168:169], v[126:127]
	v_fma_f64 v[30:31], v[164:165], v[120:121], -v[30:31]
	v_mul_f64 v[32:33], v[164:165], v[122:123]
	v_fma_f64 v[40:41], v[56:57], s[20:21], -v[38:39]
	v_fmac_f64_e32 v[38:39], s[2:3], v[42:43]
	v_fma_f64 v[42:43], v[6:7], s[12:13], -v[58:59]
	v_fmac_f64_e32 v[58:59], s[22:23], v[10:11]
	v_fma_f64 v[54:55], v[8:9], s[12:13], -v[156:157]
	v_fma_f64 v[56:57], v[10:11], s[26:27], -v[158:159]
	v_fma_f64 v[158:159], v[12:13], s[26:27], -v[160:161]
	v_add_f64 v[160:161], v[36:37], v[162:163]
	v_add_f64 v[36:37], v[50:51], v[14:15]
	;; [unrolled: 1-line block ×3, first 2 shown]
	v_add_f64 v[18:19], v[18:19], -v[46:47]
	v_add_f64 v[46:47], v[22:23], v[34:35]
	v_fmac_f64_e32 v[28:29], v[170:171], v[124:125]
	v_fmac_f64_e32 v[32:33], v[166:167], v[120:121]
	;; [unrolled: 1-line block ×3, first 2 shown]
	v_add_f64 v[164:165], v[38:39], v[14:15]
	v_add_f64 v[16:17], v[16:17], v[162:163]
	;; [unrolled: 1-line block ×3, first 2 shown]
	v_fmac_f64_e32 v[58:59], s[24:25], v[2:3]
	v_fmac_f64_e32 v[42:43], s[24:25], v[2:3]
	;; [unrolled: 1-line block ×3, first 2 shown]
	v_add_f64 v[52:53], v[20:21], v[48:49]
	v_add_f64 v[20:21], v[20:21], -v[48:49]
	v_add_f64 v[48:49], v[24:25], v[44:45]
	v_add_f64 v[22:23], v[22:23], -v[34:35]
	;; [unrolled: 2-line block ×3, first 2 shown]
	v_add_f64 v[30:31], v[46:47], v[50:51]
	v_add_f64 v[40:41], v[40:41], v[14:15]
	v_fmac_f64_e32 v[156:157], s[24:25], v[4:5]
	v_fmac_f64_e32 v[56:57], s[24:25], v[2:3]
	;; [unrolled: 1-line block ×3, first 2 shown]
	v_add_f64 v[4:5], v[164:165], -v[58:59]
	v_add_f64 v[10:11], v[16:17], -v[54:55]
	v_add_f64 v[12:13], v[42:43], v[36:37]
	v_add_f64 v[14:15], v[54:55], v[16:17]
	v_add_f64 v[16:17], v[36:37], -v[42:43]
	v_add_f64 v[42:43], v[58:59], v[164:165]
	v_add_f64 v[24:25], v[24:25], -v[44:45]
	;; [unrolled: 2-line block ×3, first 2 shown]
	v_add_f64 v[32:33], v[48:49], v[52:53]
	v_add_f64 v[58:59], v[26:27], v[22:23]
	;; [unrolled: 1-line block ×5, first 2 shown]
	v_add_f64 v[8:9], v[40:41], -v[56:57]
	v_add_f64 v[36:37], v[38:39], -v[158:159]
	v_add_f64 v[38:39], v[56:57], v[40:41]
	v_add_f64 v[40:41], v[160:161], -v[156:157]
	v_add_f64 v[54:55], v[46:47], -v[50:51]
	v_add_f64 v[50:51], v[50:51], -v[34:35]
	v_add_f64 v[46:47], v[34:35], -v[46:47]
	v_add_f64 v[156:157], v[28:29], v[24:25]
	v_add_f64 v[158:159], v[26:27], -v[22:23]
	v_add_f64 v[26:27], v[18:19], -v[26:27]
	;; [unrolled: 1-line block ×3, first 2 shown]
	v_add_f64 v[32:33], v[44:45], v[32:33]
	v_add_f64 v[34:35], v[58:59], v[18:19]
	;; [unrolled: 1-line block ×3, first 2 shown]
	v_add_f64 v[56:57], v[48:49], -v[52:53]
	v_add_f64 v[52:53], v[52:53], -v[44:45]
	;; [unrolled: 1-line block ×6, first 2 shown]
	v_add_f64 v[44:45], v[156:157], v[20:21]
	v_add_f64 v[20:21], v[146:147], v[32:33]
	v_mov_b64_e32 v[162:163], v[18:19]
	v_mul_f64 v[50:51], v[50:51], s[10:11]
	v_mul_f64 v[52:53], v[52:53], s[10:11]
	;; [unrolled: 1-line block ×8, first 2 shown]
	v_fmac_f64_e32 v[162:163], s[16:17], v[30:31]
	v_mov_b64_e32 v[30:31], v[20:21]
	v_fmac_f64_e32 v[30:31], s[16:17], v[32:33]
	v_fma_f64 v[32:33], s[2:3], v[46:47], v[50:51]
	v_fma_f64 v[46:47], v[54:55], s[18:19], -v[58:59]
	v_fma_f64 v[58:59], v[56:57], s[18:19], -v[144:145]
	;; [unrolled: 1-line block ×4, first 2 shown]
	v_fmac_f64_e32 v[52:53], s[2:3], v[48:49]
	v_fma_f64 v[48:49], s[22:23], v[26:27], v[146:147]
	v_fma_f64 v[56:57], v[22:23], s[12:13], -v[146:147]
	v_fma_f64 v[144:145], v[24:25], s[12:13], -v[156:157]
	v_fmac_f64_e32 v[156:157], s[22:23], v[28:29]
	v_fma_f64 v[146:147], v[26:27], s[26:27], -v[158:159]
	v_fma_f64 v[158:159], v[28:29], s[26:27], -v[160:161]
	v_add_f64 v[160:161], v[32:33], v[162:163]
	v_add_f64 v[52:53], v[52:53], v[30:31]
	;; [unrolled: 1-line block ×6, first 2 shown]
	v_fmac_f64_e32 v[48:49], s[24:25], v[34:35]
	v_fmac_f64_e32 v[156:157], s[24:25], v[44:45]
	;; [unrolled: 1-line block ×6, first 2 shown]
	v_add_f64 v[22:23], v[156:157], v[160:161]
	v_add_f64 v[24:25], v[52:53], -v[48:49]
	v_add_f64 v[26:27], v[158:159], v[50:51]
	v_add_f64 v[28:29], v[54:55], -v[146:147]
	v_add_f64 v[30:31], v[46:47], -v[144:145]
	v_add_f64 v[32:33], v[56:57], v[58:59]
	v_add_f64 v[44:45], v[144:145], v[46:47]
	v_add_f64 v[46:47], v[58:59], -v[56:57]
	v_add_f64 v[144:145], v[50:51], -v[158:159]
	v_add_f64 v[146:147], v[146:147], v[54:55]
	v_add_f64 v[156:157], v[160:161], -v[156:157]
	v_add_f64 v[158:159], v[48:49], v[52:53]
	ds_write_b128 v244, v[148:151]
	ds_write_b128 v244, v[2:5] offset:816
	ds_write_b128 v244, v[6:9] offset:1632
	;; [unrolled: 1-line block ×13, first 2 shown]
	v_mul_hi_i32_i24_e32 v3, 0xffffffb0, v110
	v_mul_i32_i24_e32 v2, 0xffffffb0, v110
	v_lshl_add_u64 v[20:21], v[0:1], 0, v[2:3]
	s_movk_i32 s12, 0x1000
	v_add_co_u32_e64 v22, s[2:3], s12, v20
	s_waitcnt lgkmcnt(0)
	s_nop 0
	v_addc_co_u32_e64 v23, s[2:3], 0, v21, s[2:3]
	; wave barrier
	ds_read_b128 v[200:203], v244
	ds_read_b128 v[4:7], v244 offset:5712
	ds_read_b128 v[196:199], v244 offset:816
	;; [unrolled: 1-line block ×13, first 2 shown]
	global_load_dwordx4 v[144:147], v[22:23], off offset:1568
	global_load_dwordx4 v[148:151], v[22:23], off offset:2384
	global_load_dwordx4 v[156:159], v[22:23], off offset:3200
	global_load_dwordx4 v[160:163], v[22:23], off offset:4016
	s_movk_i32 s13, 0x2000
	s_waitcnt vmcnt(3) lgkmcnt(12)
	v_mul_f64 v[0:1], v[6:7], v[146:147]
	v_fma_f64 v[2:3], v[4:5], v[144:145], -v[0:1]
	v_mul_f64 v[0:1], v[4:5], v[146:147]
	s_waitcnt vmcnt(2) lgkmcnt(10)
	v_mul_f64 v[4:5], v[10:11], v[150:151]
	v_fmac_f64_e32 v[0:1], v[6:7], v[144:145]
	v_fma_f64 v[6:7], v[8:9], v[148:149], -v[4:5]
	v_mul_f64 v[4:5], v[8:9], v[150:151]
	s_waitcnt vmcnt(1) lgkmcnt(8)
	v_mul_f64 v[8:9], v[14:15], v[158:159]
	v_fmac_f64_e32 v[4:5], v[10:11], v[148:149]
	v_fma_f64 v[10:11], v[12:13], v[156:157], -v[8:9]
	v_mul_f64 v[8:9], v[12:13], v[158:159]
	s_waitcnt vmcnt(0) lgkmcnt(6)
	v_mul_f64 v[12:13], v[18:19], v[162:163]
	v_fma_f64 v[24:25], v[16:17], v[160:161], -v[12:13]
	v_add_co_u32_e64 v12, s[2:3], s13, v20
	v_fmac_f64_e32 v[8:9], v[14:15], v[156:157]
	s_nop 0
	v_addc_co_u32_e64 v13, s[2:3], 0, v21, s[2:3]
	global_load_dwordx4 v[164:167], v[12:13], off offset:736
	v_mul_f64 v[26:27], v[16:17], v[162:163]
	v_fmac_f64_e32 v[26:27], v[18:19], v[160:161]
	v_add_f64 v[18:19], v[198:199], -v[4:5]
	v_add_f64 v[16:17], v[196:197], -v[6:7]
	v_fma_f64 v[6:7], v[198:199], 2.0, -v[18:19]
	v_add_f64 v[20:21], v[192:193], -v[10:11]
	v_add_f64 v[22:23], v[194:195], -v[8:9]
	;; [unrolled: 1-line block ×4, first 2 shown]
	s_mov_b64 s[2:3], 0x2ca0
	v_fma_f64 v[4:5], v[196:197], 2.0, -v[16:17]
	v_fma_f64 v[8:9], v[192:193], 2.0, -v[20:21]
	;; [unrolled: 1-line block ×5, first 2 shown]
	s_waitcnt vmcnt(0) lgkmcnt(4)
	v_mul_f64 v[14:15], v[170:171], v[166:167]
	v_mul_f64 v[34:35], v[168:169], v[166:167]
	v_fma_f64 v[32:33], v[168:169], v[164:165], -v[14:15]
	v_fmac_f64_e32 v[34:35], v[170:171], v[164:165]
	global_load_dwordx4 v[168:171], v[12:13], off offset:1552
	v_add_f64 v[32:33], v[184:185], -v[32:33]
	v_add_f64 v[34:35], v[186:187], -v[34:35]
	v_fma_f64 v[36:37], v[184:185], 2.0, -v[32:33]
	v_fma_f64 v[38:39], v[186:187], 2.0, -v[34:35]
	s_waitcnt vmcnt(0) lgkmcnt(2)
	v_mul_f64 v[14:15], v[174:175], v[170:171]
	v_mul_f64 v[42:43], v[172:173], v[170:171]
	v_fma_f64 v[40:41], v[172:173], v[168:169], -v[14:15]
	v_fmac_f64_e32 v[42:43], v[174:175], v[168:169]
	global_load_dwordx4 v[172:175], v[12:13], off offset:2368
	v_add_f64 v[14:15], v[202:203], -v[0:1]
	v_add_f64 v[40:41], v[180:181], -v[40:41]
	;; [unrolled: 1-line block ×3, first 2 shown]
	v_fma_f64 v[44:45], v[180:181], 2.0, -v[40:41]
	v_fma_f64 v[46:47], v[182:183], 2.0, -v[42:43]
	s_waitcnt vmcnt(0) lgkmcnt(0)
	v_mul_f64 v[12:13], v[206:207], v[174:175]
	v_mul_f64 v[50:51], v[204:205], v[174:175]
	v_fma_f64 v[48:49], v[204:205], v[172:173], -v[12:13]
	v_fmac_f64_e32 v[50:51], v[206:207], v[172:173]
	v_add_f64 v[12:13], v[200:201], -v[2:3]
	v_fma_f64 v[0:1], v[200:201], 2.0, -v[12:13]
	v_fma_f64 v[2:3], v[202:203], 2.0, -v[14:15]
	v_add_f64 v[184:185], v[176:177], -v[48:49]
	v_add_f64 v[186:187], v[178:179], -v[50:51]
	v_fma_f64 v[176:177], v[176:177], 2.0, -v[184:185]
	v_fma_f64 v[178:179], v[178:179], 2.0, -v[186:187]
	ds_write_b128 v244, v[0:3]
	ds_write_b128 v244, v[12:15] offset:5712
	ds_write_b128 v244, v[4:7] offset:816
	;; [unrolled: 1-line block ×13, first 2 shown]
	v_lshl_add_u64 v[0:1], v[208:209], 0, s[2:3]
	v_add_co_u32_e64 v6, s[2:3], s13, v208
	s_waitcnt lgkmcnt(0)
	s_nop 0
	v_addc_co_u32_e64 v7, s[2:3], 0, v209, s[2:3]
	; wave barrier
	global_load_dwordx4 v[6:9], v[6:7], off offset:3232
	ds_read_b128 v[2:5], v244
	ds_read_b128 v[180:183], v244 offset:10064
	s_movk_i32 s2, 0x4000
	s_waitcnt vmcnt(0) lgkmcnt(1)
	v_mul_f64 v[10:11], v[4:5], v[8:9]
	v_mul_f64 v[12:13], v[2:3], v[8:9]
	v_fma_f64 v[10:11], v[2:3], v[6:7], -v[10:11]
	v_fmac_f64_e32 v[12:13], v[4:5], v[6:7]
	global_load_dwordx4 v[6:9], v[0:1], off offset:3808
	ds_read_b128 v[2:5], v244 offset:3808
	ds_write_b128 v244, v[10:13]
	s_waitcnt vmcnt(0) lgkmcnt(1)
	v_mul_f64 v[10:11], v[4:5], v[8:9]
	v_fma_f64 v[10:11], v[2:3], v[6:7], -v[10:11]
	v_mul_f64 v[12:13], v[2:3], v[8:9]
	v_add_co_u32_e64 v2, s[2:3], s2, v208
	v_fmac_f64_e32 v[12:13], v[4:5], v[6:7]
	s_nop 0
	v_addc_co_u32_e64 v3, s[2:3], 0, v209, s[2:3]
	ds_write_b128 v244, v[10:13] offset:3808
	global_load_dwordx4 v[8:11], v[2:3], off offset:2656
	ds_read_b128 v[4:7], v244 offset:7616
	s_movk_i32 s2, 0x3000
	s_waitcnt vmcnt(0) lgkmcnt(0)
	v_mul_f64 v[12:13], v[6:7], v[10:11]
	v_mul_f64 v[14:15], v[4:5], v[10:11]
	v_fma_f64 v[12:13], v[4:5], v[8:9], -v[12:13]
	v_fmac_f64_e32 v[14:15], v[6:7], v[8:9]
	global_load_dwordx4 v[8:11], v[0:1], off offset:816
	ds_read_b128 v[4:7], v244 offset:816
	ds_write_b128 v244, v[12:15] offset:7616
	s_waitcnt vmcnt(0) lgkmcnt(1)
	v_mul_f64 v[12:13], v[6:7], v[10:11]
	v_mul_f64 v[14:15], v[4:5], v[10:11]
	v_fma_f64 v[12:13], v[4:5], v[8:9], -v[12:13]
	v_fmac_f64_e32 v[14:15], v[6:7], v[8:9]
	v_add_co_u32_e64 v8, s[2:3], s2, v208
	ds_read_b128 v[4:7], v244 offset:4624
	s_nop 0
	v_addc_co_u32_e64 v9, s[2:3], 0, v209, s[2:3]
	global_load_dwordx4 v[8:11], v[8:9], off offset:3760
	ds_write_b128 v244, v[12:15] offset:816
	s_movk_i32 s2, 0x5000
	v_add_co_u32_e64 v16, s[2:3], s2, v208
	s_waitcnt vmcnt(0) lgkmcnt(1)
	v_mul_f64 v[12:13], v[6:7], v[10:11]
	v_mul_f64 v[14:15], v[4:5], v[10:11]
	v_fma_f64 v[12:13], v[4:5], v[8:9], -v[12:13]
	v_fmac_f64_e32 v[14:15], v[6:7], v[8:9]
	global_load_dwordx4 v[8:11], v[2:3], off offset:3472
	ds_read_b128 v[4:7], v244 offset:8432
	ds_write_b128 v244, v[12:15] offset:4624
	v_addc_co_u32_e64 v17, s[2:3], 0, v209, s[2:3]
	s_waitcnt vmcnt(0) lgkmcnt(1)
	v_mul_f64 v[12:13], v[6:7], v[10:11]
	v_mul_f64 v[14:15], v[4:5], v[10:11]
	v_fma_f64 v[12:13], v[4:5], v[8:9], -v[12:13]
	v_fmac_f64_e32 v[14:15], v[6:7], v[8:9]
	global_load_dwordx4 v[8:11], v[0:1], off offset:1632
	ds_read_b128 v[4:7], v244 offset:1632
	ds_write_b128 v244, v[12:15] offset:8432
	s_waitcnt vmcnt(0) lgkmcnt(1)
	v_mul_f64 v[12:13], v[6:7], v[10:11]
	v_mul_f64 v[14:15], v[4:5], v[10:11]
	v_fma_f64 v[12:13], v[4:5], v[8:9], -v[12:13]
	v_fmac_f64_e32 v[14:15], v[6:7], v[8:9]
	global_load_dwordx4 v[8:11], v[2:3], off offset:480
	ds_read_b128 v[4:7], v244 offset:5440
	ds_write_b128 v244, v[12:15] offset:1632
	;; [unrolled: 8-line block ×5, first 2 shown]
	s_waitcnt vmcnt(0) lgkmcnt(1)
	v_mul_f64 v[2:3], v[6:7], v[10:11]
	v_fma_f64 v[2:3], v[4:5], v[8:9], -v[2:3]
	v_mul_f64 v[4:5], v[4:5], v[10:11]
	v_fmac_f64_e32 v[4:5], v[6:7], v[8:9]
	ds_write_b128 v244, v[2:5] offset:6256
	global_load_dwordx4 v[2:5], v[16:17], off offset:1008
	s_waitcnt vmcnt(0)
	v_mul_f64 v[6:7], v[182:183], v[4:5]
	v_mul_f64 v[8:9], v[180:181], v[4:5]
	v_fma_f64 v[6:7], v[180:181], v[2:3], -v[6:7]
	v_fmac_f64_e32 v[8:9], v[182:183], v[2:3]
	ds_write_b128 v244, v[6:9] offset:10064
	s_and_saveexec_b64 s[10:11], vcc
	s_cbranch_execz .LBB0_13
; %bb.12:
	v_add_co_u32_e64 v6, s[2:3], s12, v0
	s_nop 1
	v_addc_co_u32_e64 v7, s[2:3], 0, v1, s[2:3]
	global_load_dwordx4 v[2:5], v[0:1], off offset:3264
	s_nop 0
	global_load_dwordx4 v[6:9], v[6:7], off offset:2976
	v_add_co_u32_e64 v0, s[2:3], s13, v0
	s_nop 1
	v_addc_co_u32_e64 v1, s[2:3], 0, v1, s[2:3]
	global_load_dwordx4 v[10:13], v[0:1], off offset:2688
	ds_read_b128 v[14:17], v244 offset:3264
	ds_read_b128 v[18:21], v244 offset:7072
	;; [unrolled: 1-line block ×3, first 2 shown]
	s_waitcnt vmcnt(2) lgkmcnt(2)
	v_mul_f64 v[0:1], v[16:17], v[4:5]
	v_mul_f64 v[28:29], v[14:15], v[4:5]
	v_fma_f64 v[26:27], v[14:15], v[2:3], -v[0:1]
	v_fmac_f64_e32 v[28:29], v[16:17], v[2:3]
	s_waitcnt vmcnt(1) lgkmcnt(1)
	v_mul_f64 v[0:1], v[20:21], v[8:9]
	v_mul_f64 v[2:3], v[18:19], v[8:9]
	v_fma_f64 v[0:1], v[18:19], v[6:7], -v[0:1]
	s_waitcnt vmcnt(0) lgkmcnt(0)
	v_mul_f64 v[4:5], v[24:25], v[12:13]
	v_mul_f64 v[8:9], v[22:23], v[12:13]
	v_fmac_f64_e32 v[2:3], v[20:21], v[6:7]
	ds_write_b128 v244, v[26:29] offset:3264
	v_fma_f64 v[6:7], v[22:23], v[10:11], -v[4:5]
	v_fmac_f64_e32 v[8:9], v[24:25], v[10:11]
	ds_write_b128 v244, v[0:3] offset:7072
	ds_write_b128 v244, v[6:9] offset:10880
.LBB0_13:
	s_or_b64 exec, exec, s[10:11]
	s_waitcnt lgkmcnt(0)
	; wave barrier
	s_waitcnt lgkmcnt(0)
	ds_read_b128 v[188:191], v244
	ds_read_b128 v[192:195], v244 offset:816
	ds_read_b128 v[208:211], v244 offset:3808
	;; [unrolled: 1-line block ×11, first 2 shown]
	s_and_saveexec_b64 s[2:3], vcc
	s_cbranch_execz .LBB0_15
; %bb.14:
	ds_read_b128 v[176:179], v244 offset:3264
	ds_read_b128 v[184:187], v244 offset:7072
	;; [unrolled: 1-line block ×3, first 2 shown]
.LBB0_15:
	s_or_b64 exec, exec, s[2:3]
	s_waitcnt lgkmcnt(9)
	v_add_f64 v[0:1], v[188:189], v[208:209]
	s_waitcnt lgkmcnt(7)
	v_add_f64 v[180:181], v[0:1], v[240:241]
	v_add_f64 v[0:1], v[208:209], v[240:241]
	s_mov_b32 s2, 0xe8584caa
	v_fmac_f64_e32 v[188:189], -0.5, v[0:1]
	v_add_f64 v[0:1], v[210:211], -v[242:243]
	s_mov_b32 s3, 0xbfebb67a
	s_mov_b32 s11, 0x3febb67a
	;; [unrolled: 1-line block ×3, first 2 shown]
	v_fma_f64 v[196:197], s[2:3], v[0:1], v[188:189]
	v_fmac_f64_e32 v[188:189], s[10:11], v[0:1]
	v_add_f64 v[0:1], v[190:191], v[210:211]
	v_add_f64 v[182:183], v[0:1], v[242:243]
	;; [unrolled: 1-line block ×3, first 2 shown]
	v_fmac_f64_e32 v[190:191], -0.5, v[0:1]
	v_add_f64 v[0:1], v[208:209], -v[240:241]
	v_fma_f64 v[198:199], s[10:11], v[0:1], v[190:191]
	v_fmac_f64_e32 v[190:191], s[2:3], v[0:1]
	v_add_f64 v[0:1], v[192:193], v[214:215]
	s_waitcnt lgkmcnt(6)
	v_add_f64 v[208:209], v[0:1], v[218:219]
	v_add_f64 v[0:1], v[214:215], v[218:219]
	v_fmac_f64_e32 v[192:193], -0.5, v[0:1]
	v_add_f64 v[0:1], v[216:217], -v[220:221]
	v_fma_f64 v[212:213], s[2:3], v[0:1], v[192:193]
	v_fmac_f64_e32 v[192:193], s[10:11], v[0:1]
	v_add_f64 v[0:1], v[194:195], v[216:217]
	v_add_f64 v[210:211], v[0:1], v[220:221]
	;; [unrolled: 1-line block ×3, first 2 shown]
	v_fmac_f64_e32 v[194:195], -0.5, v[0:1]
	v_add_f64 v[0:1], v[214:215], -v[218:219]
	v_fma_f64 v[214:215], s[10:11], v[0:1], v[194:195]
	v_fmac_f64_e32 v[194:195], s[2:3], v[0:1]
	s_waitcnt lgkmcnt(3)
	v_add_f64 v[0:1], v[204:205], v[232:233]
	s_waitcnt lgkmcnt(1)
	v_add_f64 v[216:217], v[0:1], v[236:237]
	v_add_f64 v[0:1], v[232:233], v[236:237]
	v_fmac_f64_e32 v[204:205], -0.5, v[0:1]
	v_add_f64 v[0:1], v[234:235], -v[238:239]
	v_fma_f64 v[220:221], s[2:3], v[0:1], v[204:205]
	v_fmac_f64_e32 v[204:205], s[10:11], v[0:1]
	v_add_f64 v[0:1], v[206:207], v[234:235]
	v_add_f64 v[218:219], v[0:1], v[238:239]
	;; [unrolled: 1-line block ×3, first 2 shown]
	v_fmac_f64_e32 v[206:207], -0.5, v[0:1]
	v_add_f64 v[0:1], v[232:233], -v[236:237]
	v_fma_f64 v[222:223], s[10:11], v[0:1], v[206:207]
	v_fmac_f64_e32 v[206:207], s[2:3], v[0:1]
	v_add_f64 v[0:1], v[200:201], v[224:225]
	s_waitcnt lgkmcnt(0)
	v_add_f64 v[236:237], v[0:1], v[228:229]
	v_add_f64 v[0:1], v[224:225], v[228:229]
	v_fmac_f64_e32 v[200:201], -0.5, v[0:1]
	v_add_f64 v[0:1], v[226:227], -v[230:231]
	v_fma_f64 v[232:233], s[2:3], v[0:1], v[200:201]
	v_fmac_f64_e32 v[200:201], s[10:11], v[0:1]
	v_add_f64 v[0:1], v[202:203], v[226:227]
	v_add_f64 v[238:239], v[0:1], v[230:231]
	v_add_f64 v[0:1], v[226:227], v[230:231]
	v_fmac_f64_e32 v[202:203], -0.5, v[0:1]
	v_add_f64 v[0:1], v[224:225], -v[228:229]
	v_fma_f64 v[234:235], s[10:11], v[0:1], v[202:203]
	v_fmac_f64_e32 v[202:203], s[2:3], v[0:1]
	v_add_f64 v[0:1], v[176:177], v[184:185]
	;; [unrolled: 7-line block ×3, first 2 shown]
	v_add_f64 v[230:231], v[0:1], v[154:155]
	v_add_f64 v[0:1], v[186:187], v[154:155]
	v_fmac_f64_e32 v[178:179], -0.5, v[0:1]
	v_add_f64 v[0:1], v[184:185], -v[152:153]
	v_fma_f64 v[226:227], s[10:11], v[0:1], v[178:179]
	v_fmac_f64_e32 v[178:179], s[2:3], v[0:1]
	s_waitcnt lgkmcnt(0)
	; wave barrier
	ds_write_b128 v248, v[180:183]
	ds_write_b128 v248, v[196:199] offset:16
	ds_write_b128 v248, v[188:191] offset:32
	ds_write_b128 v249, v[208:211]
	ds_write_b128 v249, v[212:215] offset:16
	ds_write_b128 v249, v[192:195] offset:32
	;; [unrolled: 3-line block ×4, first 2 shown]
	s_and_saveexec_b64 s[2:3], vcc
	s_cbranch_execz .LBB0_17
; %bb.16:
	v_lshlrev_b32_e32 v0, 4, v254
	ds_write_b128 v0, v[228:231]
	ds_write_b128 v0, v[224:227] offset:16
	ds_write_b128 v0, v[176:179] offset:32
.LBB0_17:
	s_or_b64 exec, exec, s[2:3]
	s_waitcnt lgkmcnt(0)
	; wave barrier
	s_waitcnt lgkmcnt(0)
	s_and_saveexec_b64 s[2:3], s[0:1]
	s_cbranch_execz .LBB0_19
; %bb.18:
	ds_read_b128 v[180:183], v244
	ds_read_b128 v[196:199], v244 offset:672
	ds_read_b128 v[188:191], v244 offset:1344
	;; [unrolled: 1-line block ×16, first 2 shown]
.LBB0_19:
	s_or_b64 exec, exec, s[2:3]
	s_waitcnt lgkmcnt(0)
	; wave barrier
	s_waitcnt lgkmcnt(0)
	s_and_saveexec_b64 s[2:3], s[0:1]
	s_cbranch_execz .LBB0_21
; %bb.20:
	v_mul_f64 v[4:5], v[78:79], v[204:205]
	v_fma_f64 v[6:7], v[76:77], v[206:207], -v[4:5]
	v_mul_f64 v[4:5], v[90:91], v[236:237]
	v_mul_f64 v[12:13], v[74:75], v[220:221]
	v_fma_f64 v[4:5], v[88:89], v[238:239], -v[4:5]
	v_fma_f64 v[10:11], v[72:73], v[222:223], -v[12:13]
	v_mul_f64 v[12:13], v[86:87], v[232:233]
	v_mul_f64 v[20:21], v[70:71], v[216:217]
	v_add_f64 v[28:29], v[6:7], v[4:5]
	v_mov_b64_e32 v[24:25], v[6:7]
	v_mul_f64 v[6:7], v[86:87], v[234:235]
	v_fma_f64 v[8:9], v[84:85], v[234:235], -v[12:13]
	v_fma_f64 v[26:27], v[68:69], v[218:219], -v[20:21]
	v_mul_f64 v[20:21], v[82:83], v[200:201]
	v_mul_f64 v[2:3], v[90:91], v[238:239]
	v_fmac_f64_e32 v[6:7], v[84:85], v[232:233]
	v_add_f64 v[38:39], v[10:11], v[8:9]
	v_mov_b64_e32 v[84:85], v[8:9]
	v_fma_f64 v[8:9], v[80:81], v[202:203], -v[20:21]
	v_fmac_f64_e32 v[2:3], v[88:89], v[236:237]
	v_mov_b64_e32 v[86:87], v[10:11]
	v_add_f64 v[152:153], v[26:27], v[8:9]
	v_mov_b64_e32 v[88:89], v[8:9]
	v_accvgpr_read_b32 v8, a62
	v_accvgpr_read_b32 v10, a64
	;; [unrolled: 1-line block ×3, first 2 shown]
	v_mul_f64 v[0:1], v[78:79], v[206:207]
	v_accvgpr_read_b32 v9, a63
	v_mul_f64 v[32:33], v[10:11], v[214:215]
	v_mul_f64 v[40:41], v[10:11], v[212:213]
	v_fmac_f64_e32 v[0:1], v[76:77], v[204:205]
	v_mul_f64 v[12:13], v[82:83], v[202:203]
	v_mul_f64 v[30:31], v[66:67], v[192:193]
	v_fmac_f64_e32 v[32:33], v[8:9], v[212:213]
	v_fma_f64 v[16:17], v[8:9], v[214:215], -v[40:41]
	v_accvgpr_read_b32 v8, a58
	v_accvgpr_read_b32 v79, a57
	v_fmac_f64_e32 v[12:13], v[80:81], v[200:201]
	v_fma_f64 v[36:37], v[64:65], v[194:195], -v[30:31]
	v_mul_f64 v[30:31], v[62:63], v[228:229]
	v_mul_f64 v[40:41], v[102:103], v[224:225]
	v_accvgpr_read_b32 v10, a60
	v_accvgpr_read_b32 v11, a61
	;; [unrolled: 1-line block ×4, first 2 shown]
	v_mov_b64_e32 v[18:19], v[4:5]
	v_mul_f64 v[4:5], v[74:75], v[222:223]
	v_mul_f64 v[14:15], v[70:71], v[218:219]
	v_fma_f64 v[34:35], v[60:61], v[230:231], -v[30:31]
	v_mul_f64 v[30:31], v[102:103], v[226:227]
	v_fma_f64 v[42:43], v[100:101], v[226:227], -v[40:41]
	v_accvgpr_read_b32 v9, a59
	v_mul_f64 v[40:41], v[106:107], v[178:179]
	v_mul_f64 v[70:71], v[10:11], v[208:209]
	v_accvgpr_read_b32 v77, a55
	v_accvgpr_read_b32 v76, a54
	v_mul_f64 v[102:103], v[98:99], v[118:119]
	v_mul_f64 v[74:75], v[78:79], v[188:189]
	v_accvgpr_read_b32 v82, a2
	v_accvgpr_read_b32 v81, a1
	;; [unrolled: 1-line block ×3, first 2 shown]
	v_accvgpr_write_b32 a0, v108
	v_mul_f64 v[44:45], v[10:11], v[210:211]
	v_fmac_f64_e32 v[40:41], v[104:105], v[176:177]
	v_fma_f64 v[186:187], v[8:9], v[210:211], -v[70:71]
	v_mul_f64 v[70:71], v[106:107], v[176:177]
	v_mul_f64 v[106:107], v[78:79], v[190:191]
	v_fmac_f64_e32 v[102:103], v[96:97], v[116:117]
	v_fma_f64 v[176:177], v[76:77], v[190:191], -v[74:75]
	v_mul_f64 v[74:75], v[98:99], v[116:117]
	v_mul_f64 v[116:117], v[82:83], v[198:199]
	v_accvgpr_write_b32 a1, v109
	v_mul_f64 v[108:109], v[94:95], v[114:115]
	v_mul_f64 v[78:79], v[82:83], v[196:197]
	v_fmac_f64_e32 v[44:45], v[8:9], v[208:209]
	v_fma_f64 v[8:9], v[96:97], v[118:119], -v[74:75]
	v_fmac_f64_e32 v[116:117], v[80:81], v[196:197]
	v_fmac_f64_e32 v[108:109], v[92:93], v[112:113]
	s_mov_b32 s34, 0xacd6c6b4
	v_fma_f64 v[118:119], v[80:81], v[198:199], -v[78:79]
	v_mul_f64 v[78:79], v[94:95], v[112:113]
	v_fmac_f64_e32 v[106:107], v[76:77], v[188:189]
	s_mov_b32 s36, 0x5d8e7cdc
	v_add_f64 v[218:219], v[116:117], -v[108:109]
	s_mov_b32 s35, 0xbfc7851a
	v_fma_f64 v[112:113], v[92:93], v[114:115], -v[78:79]
	s_mov_b32 s28, 0x7faef3
	s_mov_b32 s26, 0x4363dd80
	v_add_f64 v[208:209], v[106:107], -v[102:103]
	s_mov_b32 s37, 0x3fd71e95
	s_mov_b32 s24, 0x370991
	v_mul_f64 v[76:77], v[218:219], s[34:35]
	v_add_f64 v[114:115], v[118:119], v[112:113]
	s_mov_b32 s29, 0xbfef7484
	v_add_f64 v[234:235], v[118:119], -v[112:113]
	v_fmac_f64_e32 v[4:5], v[72:73], v[220:221]
	v_fmac_f64_e32 v[14:15], v[68:69], v[216:217]
	v_mul_f64 v[22:23], v[66:67], v[194:195]
	v_mul_f64 v[20:21], v[62:63], v[230:231]
	v_fmac_f64_e32 v[30:31], v[100:101], v[224:225]
	s_mov_b32 s40, 0x2a9d6da3
	v_add_f64 v[202:203], v[44:45], -v[40:41]
	s_mov_b32 s27, 0xbfe0d888
	v_fma_f64 v[10:11], v[104:105], v[178:179], -v[70:71]
	s_mov_b32 s22, 0x910ea3b9
	v_mul_f64 v[72:73], v[208:209], s[36:37]
	v_add_f64 v[188:189], v[176:177], v[8:9]
	s_mov_b32 s25, 0x3fedd6d0
	v_fma_f64 v[78:79], s[28:29], v[114:115], v[76:77]
	v_add_f64 v[232:233], v[176:177], -v[8:9]
	v_add_f64 v[216:217], v[116:117], v[108:109]
	v_mul_f64 v[94:95], v[234:235], s[34:35]
	v_fmac_f64_e32 v[22:23], v[64:65], v[192:193]
	v_fmac_f64_e32 v[20:21], v[60:61], v[228:229]
	s_mov_b32 s20, 0x6c9a05f6
	v_add_f64 v[194:195], v[32:33], -v[30:31]
	s_mov_b32 s41, 0x3fe58eea
	s_mov_b32 s18, 0x75d4884
	v_mul_f64 v[62:63], v[202:203], s[26:27]
	v_add_f64 v[178:179], v[186:187], v[10:11]
	s_mov_b32 s23, 0xbfeb34fa
	v_fma_f64 v[74:75], s[24:25], v[188:189], v[72:73]
	v_add_f64 v[78:79], v[182:183], v[78:79]
	v_accvgpr_write_b32 a80, v86
	v_add_f64 v[230:231], v[186:187], -v[10:11]
	v_add_f64 v[214:215], v[106:107], v[102:103]
	v_mul_f64 v[90:91], v[232:233], s[36:37]
	v_fma_f64 v[96:97], v[216:217], s[28:29], -v[94:95]
	s_mov_b32 s30, 0x7c9e640b
	v_add_f64 v[200:201], v[22:23], -v[20:21]
	s_mov_b32 s21, 0xbfe9895b
	s_mov_b32 s16, 0x6ed5f1bb
	v_mul_f64 v[66:67], v[194:195], s[40:41]
	v_add_f64 v[192:193], v[16:17], v[42:43]
	s_mov_b32 s19, 0x3fe7a5f6
	v_fma_f64 v[70:71], s[22:23], v[178:179], v[62:63]
	v_add_f64 v[74:75], v[74:75], v[78:79]
	v_add_f64 v[222:223], v[86:87], -v[84:85]
	v_accvgpr_write_b32 a81, v87
	v_accvgpr_write_b32 a82, v88
	v_add_f64 v[228:229], v[16:17], -v[42:43]
	v_add_f64 v[212:213], v[44:45], v[40:41]
	v_mul_f64 v[86:87], v[230:231], s[26:27]
	v_fma_f64 v[92:93], v[214:215], s[24:25], -v[90:91]
	v_add_f64 v[96:97], v[180:181], v[96:97]
	s_mov_b32 s14, 0x923c349f
	v_add_f64 v[204:205], v[14:15], -v[12:13]
	s_mov_b32 s31, 0x3feca52d
	s_mov_b32 s12, 0x2b2883cd
	v_mul_f64 v[68:69], v[200:201], s[20:21]
	v_add_f64 v[184:185], v[36:37], v[34:35]
	s_mov_b32 s17, 0xbfe348c8
	v_fma_f64 v[60:61], s[18:19], v[192:193], v[66:67]
	v_add_f64 v[70:71], v[70:71], v[74:75]
	v_accvgpr_write_b32 a78, v84
	v_add_f64 v[224:225], v[26:27], -v[88:89]
	v_accvgpr_write_b32 a83, v89
	v_add_f64 v[226:227], v[36:37], -v[34:35]
	v_add_f64 v[210:211], v[32:33], v[30:31]
	v_mul_f64 v[82:83], v[228:229], s[40:41]
	v_fma_f64 v[88:89], v[212:213], s[22:23], -v[86:87]
	v_add_f64 v[92:93], v[92:93], v[96:97]
	s_mov_b32 s46, 0xeb564b22
	v_add_f64 v[154:155], v[4:5], -v[6:7]
	s_mov_b32 s15, 0xbfeec746
	s_mov_b32 s10, 0xc61f0d01
	v_mul_f64 v[56:57], v[204:205], s[30:31]
	s_mov_b32 s13, 0x3fdc86fa
	v_fma_f64 v[64:65], s[16:17], v[184:185], v[68:69]
	v_add_f64 v[60:61], v[60:61], v[70:71]
	v_accvgpr_write_b32 a79, v85
	v_add_f64 v[206:207], v[22:23], v[20:21]
	v_mul_f64 v[78:79], v[226:227], s[20:21]
	v_fma_f64 v[84:85], v[210:211], s[18:19], -v[82:83]
	v_add_f64 v[88:89], v[88:89], v[92:93]
	v_add_f64 v[46:47], v[0:1], -v[2:3]
	s_mov_b32 s47, 0x3fefdd0d
	s_mov_b32 s0, 0x3259b75e
	v_mul_f64 v[54:55], v[154:155], s[14:15]
	s_mov_b32 s11, 0xbfd183b1
	v_fma_f64 v[58:59], s[12:13], v[152:153], v[56:57]
	v_add_f64 v[60:61], v[64:65], v[60:61]
	v_add_f64 v[198:199], v[14:15], v[12:13]
	v_mul_f64 v[70:71], v[224:225], s[30:31]
	v_fma_f64 v[80:81], v[206:207], s[16:17], -v[78:79]
	v_add_f64 v[84:85], v[84:85], v[88:89]
	v_mul_f64 v[52:53], v[46:47], s[46:47]
	s_mov_b32 s1, 0x3fb79ee6
	v_fma_f64 v[50:51], s[10:11], v[38:39], v[54:55]
	v_add_f64 v[58:59], v[58:59], v[60:61]
	v_add_f64 v[220:221], v[24:25], -v[18:19]
	v_add_f64 v[196:197], v[4:5], v[6:7]
	v_mul_f64 v[60:61], v[222:223], s[14:15]
	v_fma_f64 v[74:75], v[198:199], s[12:13], -v[70:71]
	v_add_f64 v[80:81], v[80:81], v[84:85]
	v_fma_f64 v[48:49], s[0:1], v[28:29], v[52:53]
	v_add_f64 v[50:51], v[50:51], v[58:59]
	v_add_f64 v[190:191], v[0:1], v[2:3]
	v_mul_f64 v[58:59], v[220:221], s[46:47]
	v_fma_f64 v[64:65], v[196:197], s[10:11], -v[60:61]
	v_add_f64 v[74:75], v[74:75], v[80:81]
	v_add_f64 v[50:51], v[48:49], v[50:51]
	v_fma_f64 v[48:49], v[190:191], s[0:1], -v[58:59]
	v_add_f64 v[64:65], v[64:65], v[74:75]
	v_add_f64 v[48:49], v[48:49], v[64:65]
	v_fma_f64 v[64:65], v[184:185], s[16:17], -v[68:69]
	v_fma_f64 v[68:69], v[188:189], s[24:25], -v[72:73]
	;; [unrolled: 1-line block ×3, first 2 shown]
	v_add_f64 v[72:73], v[182:183], v[72:73]
	v_fma_f64 v[62:63], v[178:179], s[22:23], -v[62:63]
	v_add_f64 v[68:69], v[68:69], v[72:73]
	v_fma_f64 v[66:67], v[192:193], s[18:19], -v[66:67]
	v_add_f64 v[62:63], v[62:63], v[68:69]
	v_add_f64 v[62:63], v[66:67], v[62:63]
	v_fma_f64 v[56:57], v[152:153], s[12:13], -v[56:57]
	v_add_f64 v[62:63], v[64:65], v[62:63]
	v_fma_f64 v[54:55], v[38:39], s[10:11], -v[54:55]
	;; [unrolled: 2-line block ×3, first 2 shown]
	v_add_f64 v[54:55], v[54:55], v[56:57]
	v_fmac_f64_e32 v[94:95], s[28:29], v[216:217]
	v_add_f64 v[54:55], v[52:53], v[54:55]
	v_fmac_f64_e32 v[90:91], s[24:25], v[214:215]
	;; [unrolled: 2-line block ×3, first 2 shown]
	v_add_f64 v[52:53], v[90:91], v[52:53]
	v_mul_f64 v[84:85], v[218:219], s[26:27]
	v_fmac_f64_e32 v[82:83], s[18:19], v[210:211]
	v_add_f64 v[52:53], v[86:87], v[52:53]
	s_mov_b32 s43, 0xbfefdd0d
	s_mov_b32 s42, s46
	v_mul_f64 v[80:81], v[208:209], s[30:31]
	v_fma_f64 v[86:87], s[22:23], v[114:115], v[84:85]
	v_mul_f64 v[238:239], v[234:235], s[26:27]
	v_fmac_f64_e32 v[78:79], s[16:17], v[206:207]
	v_add_f64 v[52:53], v[82:83], v[52:53]
	s_mov_b32 s53, 0x3fe9895b
	s_mov_b32 s52, s20
	v_mul_f64 v[76:77], v[202:203], s[42:43]
	v_fma_f64 v[82:83], s[12:13], v[188:189], v[80:81]
	v_add_f64 v[86:87], v[182:183], v[86:87]
	v_mul_f64 v[98:99], v[232:233], s[30:31]
	v_fma_f64 v[240:241], v[216:217], s[22:23], -v[238:239]
	v_add_f64 v[52:53], v[78:79], v[52:53]
	s_mov_b32 s39, 0xbfd71e95
	s_mov_b32 s38, s36
	v_mul_f64 v[72:73], v[194:195], s[52:53]
	v_fma_f64 v[78:79], s[0:1], v[178:179], v[76:77]
	v_add_f64 v[82:83], v[82:83], v[86:87]
	v_mul_f64 v[94:95], v[230:231], s[42:43]
	v_fma_f64 v[236:237], v[214:215], s[12:13], -v[98:99]
	v_add_f64 v[240:241], v[180:181], v[240:241]
	v_fmac_f64_e32 v[70:71], s[12:13], v[198:199]
	v_mul_f64 v[68:69], v[200:201], s[38:39]
	v_fma_f64 v[74:75], s[16:17], v[192:193], v[72:73]
	v_add_f64 v[78:79], v[78:79], v[82:83]
	v_mul_f64 v[90:91], v[228:229], s[52:53]
	v_fma_f64 v[96:97], v[212:213], s[0:1], -v[94:95]
	v_add_f64 v[236:237], v[236:237], v[240:241]
	v_fmac_f64_e32 v[60:61], s[10:11], v[196:197]
	v_add_f64 v[52:53], v[70:71], v[52:53]
	v_mul_f64 v[64:65], v[204:205], s[34:35]
	v_fma_f64 v[70:71], s[24:25], v[184:185], v[68:69]
	v_add_f64 v[74:75], v[74:75], v[78:79]
	v_mul_f64 v[86:87], v[226:227], s[38:39]
	v_fma_f64 v[92:93], v[210:211], s[16:17], -v[90:91]
	v_add_f64 v[96:97], v[96:97], v[236:237]
	v_fmac_f64_e32 v[58:59], s[0:1], v[190:191]
	v_add_f64 v[52:53], v[60:61], v[52:53]
	v_mul_f64 v[62:63], v[154:155], s[40:41]
	v_fma_f64 v[66:67], s[28:29], v[152:153], v[64:65]
	v_add_f64 v[70:71], v[70:71], v[74:75]
	v_mul_f64 v[78:79], v[224:225], s[34:35]
	v_fma_f64 v[88:89], v[206:207], s[24:25], -v[86:87]
	v_add_f64 v[92:93], v[92:93], v[96:97]
	v_add_f64 v[52:53], v[58:59], v[52:53]
	v_mul_f64 v[60:61], v[46:47], s[14:15]
	v_fma_f64 v[58:59], s[18:19], v[38:39], v[62:63]
	v_add_f64 v[66:67], v[66:67], v[70:71]
	v_mul_f64 v[70:71], v[222:223], s[40:41]
	v_fma_f64 v[82:83], v[198:199], s[28:29], -v[78:79]
	v_add_f64 v[88:89], v[88:89], v[92:93]
	v_fma_f64 v[56:57], s[10:11], v[28:29], v[60:61]
	v_add_f64 v[58:59], v[58:59], v[66:67]
	v_mul_f64 v[66:67], v[220:221], s[14:15]
	v_fma_f64 v[74:75], v[196:197], s[18:19], -v[70:71]
	v_add_f64 v[82:83], v[82:83], v[88:89]
	v_add_f64 v[58:59], v[56:57], v[58:59]
	v_fma_f64 v[56:57], v[190:191], s[10:11], -v[66:67]
	v_add_f64 v[74:75], v[74:75], v[82:83]
	v_add_f64 v[56:57], v[56:57], v[74:75]
	v_fma_f64 v[74:75], v[178:179], s[0:1], -v[76:77]
	v_fma_f64 v[76:77], v[188:189], s[12:13], -v[80:81]
	;; [unrolled: 1-line block ×3, first 2 shown]
	v_add_f64 v[80:81], v[182:183], v[80:81]
	v_add_f64 v[76:77], v[76:77], v[80:81]
	v_fma_f64 v[72:73], v[192:193], s[16:17], -v[72:73]
	v_add_f64 v[74:75], v[74:75], v[76:77]
	v_fma_f64 v[68:69], v[184:185], s[24:25], -v[68:69]
	;; [unrolled: 2-line block ×5, first 2 shown]
	v_add_f64 v[62:63], v[62:63], v[64:65]
	v_fmac_f64_e32 v[238:239], s[22:23], v[216:217]
	v_add_f64 v[62:63], v[60:61], v[62:63]
	v_fmac_f64_e32 v[98:99], s[12:13], v[214:215]
	;; [unrolled: 2-line block ×3, first 2 shown]
	v_add_f64 v[60:61], v[98:99], v[60:61]
	s_mov_b32 s51, 0x3feec746
	s_mov_b32 s50, s14
	v_mul_f64 v[92:93], v[218:219], s[20:21]
	v_fmac_f64_e32 v[90:91], s[16:17], v[210:211]
	v_add_f64 v[60:61], v[94:95], v[60:61]
	v_mul_f64 v[88:89], v[208:209], s[50:51]
	v_fma_f64 v[94:95], s[16:17], v[114:115], v[92:93]
	v_mul_f64 v[252:253], v[234:235], s[20:21]
	v_fmac_f64_e32 v[86:87], s[24:25], v[206:207]
	v_add_f64 v[60:61], v[90:91], v[60:61]
	v_mul_f64 v[84:85], v[202:203], s[38:39]
	v_fma_f64 v[90:91], s[10:11], v[188:189], v[88:89]
	v_add_f64 v[94:95], v[182:183], v[94:95]
	v_mul_f64 v[242:243], v[232:233], s[50:51]
	v_fma_f64 v[254:255], v[216:217], s[16:17], -v[252:253]
	v_add_f64 v[60:61], v[86:87], v[60:61]
	v_mul_f64 v[80:81], v[194:195], s[26:27]
	v_fma_f64 v[86:87], s[24:25], v[178:179], v[84:85]
	v_add_f64 v[90:91], v[90:91], v[94:95]
	v_mul_f64 v[238:239], v[230:231], s[38:39]
	v_fma_f64 v[246:247], v[214:215], s[10:11], -v[242:243]
	v_add_f64 v[254:255], v[180:181], v[254:255]
	v_fmac_f64_e32 v[78:79], s[28:29], v[198:199]
	s_mov_b32 s45, 0xbfe58eea
	s_mov_b32 s44, s40
	v_mul_f64 v[76:77], v[200:201], s[46:47]
	v_fma_f64 v[82:83], s[22:23], v[192:193], v[80:81]
	v_add_f64 v[86:87], v[86:87], v[90:91]
	v_mul_f64 v[98:99], v[228:229], s[26:27]
	v_fma_f64 v[240:241], v[212:213], s[24:25], -v[238:239]
	v_add_f64 v[246:247], v[246:247], v[254:255]
	v_fmac_f64_e32 v[70:71], s[18:19], v[196:197]
	v_add_f64 v[60:61], v[78:79], v[60:61]
	v_mul_f64 v[72:73], v[204:205], s[44:45]
	v_fma_f64 v[78:79], s[0:1], v[184:185], v[76:77]
	v_add_f64 v[82:83], v[82:83], v[86:87]
	v_mul_f64 v[94:95], v[226:227], s[46:47]
	v_fma_f64 v[236:237], v[210:211], s[22:23], -v[98:99]
	v_add_f64 v[240:241], v[240:241], v[246:247]
	v_fmac_f64_e32 v[66:67], s[10:11], v[190:191]
	v_add_f64 v[60:61], v[70:71], v[60:61]
	v_mul_f64 v[70:71], v[154:155], s[34:35]
	v_fma_f64 v[74:75], s[18:19], v[152:153], v[72:73]
	v_add_f64 v[78:79], v[78:79], v[82:83]
	v_mul_f64 v[86:87], v[224:225], s[44:45]
	v_fma_f64 v[96:97], v[206:207], s[0:1], -v[94:95]
	v_add_f64 v[236:237], v[236:237], v[240:241]
	v_add_f64 v[60:61], v[66:67], v[60:61]
	v_mul_f64 v[68:69], v[46:47], s[30:31]
	v_fma_f64 v[66:67], s[28:29], v[38:39], v[70:71]
	v_add_f64 v[74:75], v[74:75], v[78:79]
	v_mul_f64 v[78:79], v[222:223], s[34:35]
	v_fma_f64 v[90:91], v[198:199], s[18:19], -v[86:87]
	v_add_f64 v[96:97], v[96:97], v[236:237]
	v_fma_f64 v[64:65], s[12:13], v[28:29], v[68:69]
	v_add_f64 v[66:67], v[66:67], v[74:75]
	v_mul_f64 v[74:75], v[220:221], s[30:31]
	v_fma_f64 v[82:83], v[196:197], s[28:29], -v[78:79]
	v_add_f64 v[90:91], v[90:91], v[96:97]
	v_add_f64 v[66:67], v[64:65], v[66:67]
	v_fma_f64 v[64:65], v[190:191], s[12:13], -v[74:75]
	v_add_f64 v[82:83], v[82:83], v[90:91]
	v_add_f64 v[64:65], v[64:65], v[82:83]
	v_fma_f64 v[82:83], v[178:179], s[24:25], -v[84:85]
	v_fma_f64 v[84:85], v[188:189], s[10:11], -v[88:89]
	v_fma_f64 v[88:89], v[114:115], s[16:17], -v[92:93]
	v_add_f64 v[88:89], v[182:183], v[88:89]
	v_add_f64 v[84:85], v[84:85], v[88:89]
	v_fma_f64 v[80:81], v[192:193], s[22:23], -v[80:81]
	v_add_f64 v[82:83], v[82:83], v[84:85]
	v_fma_f64 v[76:77], v[184:185], s[0:1], -v[76:77]
	;; [unrolled: 2-line block ×5, first 2 shown]
	v_add_f64 v[70:71], v[70:71], v[72:73]
	v_fmac_f64_e32 v[252:253], s[16:17], v[216:217]
	v_add_f64 v[70:71], v[68:69], v[70:71]
	v_fmac_f64_e32 v[242:243], s[10:11], v[214:215]
	;; [unrolled: 2-line block ×3, first 2 shown]
	v_add_f64 v[68:69], v[242:243], v[68:69]
	s_mov_b32 s55, 0x3fe0d888
	s_mov_b32 s54, s26
	v_mul_f64 v[236:237], v[218:219], s[14:15]
	v_accvgpr_write_b32 a75, v19
	v_fmac_f64_e32 v[98:99], s[22:23], v[210:211]
	v_add_f64 v[68:69], v[238:239], v[68:69]
	v_mul_f64 v[96:97], v[208:209], s[54:55]
	v_fma_f64 v[238:239], s[10:11], v[114:115], v[236:237]
	v_mul_f64 v[104:105], v[234:235], s[14:15]
	v_accvgpr_write_b32 a74, v18
	v_fmac_f64_e32 v[94:95], s[0:1], v[206:207]
	v_add_f64 v[68:69], v[98:99], v[68:69]
	s_mov_b32 s49, 0xbfeca52d
	s_mov_b32 s48, s30
	v_mul_f64 v[92:93], v[202:203], s[40:41]
	v_fma_f64 v[98:99], s[22:23], v[188:189], v[96:97]
	v_add_f64 v[238:239], v[182:183], v[238:239]
	v_mul_f64 v[250:251], v[232:233], s[54:55]
	v_fma_f64 v[18:19], v[216:217], s[10:11], -v[104:105]
	v_add_f64 v[68:69], v[94:95], v[68:69]
	v_mul_f64 v[88:89], v[194:195], s[48:49]
	v_fma_f64 v[94:95], s[18:19], v[178:179], v[92:93]
	v_add_f64 v[98:99], v[98:99], v[238:239]
	v_mul_f64 v[252:253], v[230:231], s[40:41]
	v_fma_f64 v[100:101], v[214:215], s[22:23], -v[250:251]
	v_add_f64 v[18:19], v[180:181], v[18:19]
	v_fmac_f64_e32 v[86:87], s[18:19], v[198:199]
	v_mul_f64 v[84:85], v[200:201], s[34:35]
	v_fma_f64 v[90:91], s[12:13], v[192:193], v[88:89]
	v_add_f64 v[94:95], v[94:95], v[98:99]
	v_mul_f64 v[242:243], v[228:229], s[48:49]
	v_fma_f64 v[254:255], v[212:213], s[18:19], -v[252:253]
	v_add_f64 v[18:19], v[100:101], v[18:19]
	v_fmac_f64_e32 v[78:79], s[28:29], v[196:197]
	v_add_f64 v[68:69], v[86:87], v[68:69]
	v_mul_f64 v[80:81], v[204:205], s[46:47]
	v_fma_f64 v[86:87], s[28:29], v[184:185], v[84:85]
	v_add_f64 v[90:91], v[90:91], v[94:95]
	v_mul_f64 v[238:239], v[226:227], s[34:35]
	v_fma_f64 v[246:247], v[210:211], s[12:13], -v[242:243]
	v_add_f64 v[18:19], v[254:255], v[18:19]
	v_fmac_f64_e32 v[74:75], s[12:13], v[190:191]
	v_add_f64 v[68:69], v[78:79], v[68:69]
	v_mul_f64 v[78:79], v[154:155], s[38:39]
	v_fma_f64 v[82:83], s[0:1], v[152:153], v[80:81]
	v_add_f64 v[86:87], v[86:87], v[90:91]
	v_mul_f64 v[94:95], v[224:225], s[46:47]
	v_fma_f64 v[240:241], v[206:207], s[28:29], -v[238:239]
	v_add_f64 v[18:19], v[246:247], v[18:19]
	v_add_f64 v[68:69], v[74:75], v[68:69]
	v_mul_f64 v[76:77], v[46:47], s[20:21]
	v_fma_f64 v[74:75], s[24:25], v[38:39], v[78:79]
	v_add_f64 v[82:83], v[82:83], v[86:87]
	v_mul_f64 v[86:87], v[222:223], s[38:39]
	v_fma_f64 v[98:99], v[198:199], s[0:1], -v[94:95]
	v_add_f64 v[18:19], v[240:241], v[18:19]
	v_fma_f64 v[72:73], s[16:17], v[28:29], v[76:77]
	v_add_f64 v[74:75], v[74:75], v[82:83]
	v_mul_f64 v[82:83], v[220:221], s[20:21]
	v_fma_f64 v[90:91], v[196:197], s[24:25], -v[86:87]
	v_add_f64 v[18:19], v[98:99], v[18:19]
	v_add_f64 v[74:75], v[72:73], v[74:75]
	v_fma_f64 v[72:73], v[190:191], s[16:17], -v[82:83]
	v_add_f64 v[18:19], v[90:91], v[18:19]
	v_add_f64 v[72:73], v[72:73], v[18:19]
	v_fma_f64 v[18:19], v[28:29], s[16:17], -v[76:77]
	v_fma_f64 v[76:77], v[38:39], s[24:25], -v[78:79]
	v_fma_f64 v[78:79], v[152:153], s[0:1], -v[80:81]
	v_fma_f64 v[80:81], v[184:185], s[28:29], -v[84:85]
	v_fma_f64 v[84:85], v[192:193], s[12:13], -v[88:89]
	v_fma_f64 v[88:89], v[178:179], s[18:19], -v[92:93]
	v_fma_f64 v[92:93], v[114:115], s[10:11], -v[236:237]
	v_fma_f64 v[90:91], v[188:189], s[22:23], -v[96:97]
	v_add_f64 v[92:93], v[182:183], v[92:93]
	v_add_f64 v[90:91], v[90:91], v[92:93]
	;; [unrolled: 1-line block ×7, first 2 shown]
	v_fmac_f64_e32 v[104:105], s[10:11], v[216:217]
	v_add_f64 v[78:79], v[18:19], v[76:77]
	v_fmac_f64_e32 v[250:251], s[22:23], v[214:215]
	v_add_f64 v[18:19], v[180:181], v[104:105]
	;; [unrolled: 2-line block ×5, first 2 shown]
	v_add_f64 v[18:19], v[238:239], v[18:19]
	v_mul_f64 v[238:239], v[218:219], s[42:43]
	v_accvgpr_write_b32 a54, v144
	v_mul_f64 v[104:105], v[208:209], s[34:35]
	v_fma_f64 v[240:241], s[0:1], v[114:115], v[238:239]
	v_accvgpr_write_b32 a55, v145
	v_accvgpr_write_b32 a56, v146
	;; [unrolled: 1-line block ×3, first 2 shown]
	v_mul_f64 v[144:145], v[234:235], s[42:43]
	v_fmac_f64_e32 v[94:95], s[0:1], v[198:199]
	v_mul_f64 v[98:99], v[202:203], s[50:51]
	v_fma_f64 v[236:237], s[28:29], v[188:189], v[104:105]
	v_add_f64 v[240:241], v[182:183], v[240:241]
	v_accvgpr_write_b32 a2, v110
	v_mul_f64 v[110:111], v[232:233], s[34:35]
	v_fma_f64 v[146:147], v[216:217], s[0:1], -v[144:145]
	v_add_f64 v[18:19], v[94:95], v[18:19]
	v_mul_f64 v[94:95], v[194:195], s[36:37]
	v_fma_f64 v[100:101], s[10:11], v[178:179], v[98:99]
	v_add_f64 v[236:237], v[236:237], v[240:241]
	v_mul_f64 v[252:253], v[230:231], s[50:51]
	v_fma_f64 v[248:249], v[214:215], s[28:29], -v[110:111]
	v_add_f64 v[146:147], v[180:181], v[146:147]
	v_fmac_f64_e32 v[86:87], s[24:25], v[196:197]
	v_mul_f64 v[90:91], v[200:201], s[48:49]
	v_fma_f64 v[96:97], s[24:25], v[192:193], v[94:95]
	v_add_f64 v[100:101], v[100:101], v[236:237]
	v_mul_f64 v[246:247], v[228:229], s[36:37]
	v_fma_f64 v[254:255], v[212:213], s[10:11], -v[252:253]
	v_add_f64 v[146:147], v[248:249], v[146:147]
	v_add_f64 v[18:19], v[86:87], v[18:19]
	v_mul_f64 v[86:87], v[204:205], s[26:27]
	v_fma_f64 v[92:93], s[12:13], v[184:185], v[90:91]
	v_add_f64 v[96:97], v[96:97], v[100:101]
	v_mul_f64 v[240:241], v[226:227], s[48:49]
	v_fma_f64 v[250:251], v[210:211], s[24:25], -v[246:247]
	v_add_f64 v[146:147], v[254:255], v[146:147]
	v_fmac_f64_e32 v[82:83], s[16:17], v[190:191]
	v_mul_f64 v[84:85], v[154:155], s[52:53]
	v_fma_f64 v[88:89], s[22:23], v[152:153], v[86:87]
	v_add_f64 v[92:93], v[92:93], v[96:97]
	v_mul_f64 v[100:101], v[224:225], s[26:27]
	v_fma_f64 v[242:243], v[206:207], s[12:13], -v[240:241]
	v_add_f64 v[146:147], v[250:251], v[146:147]
	v_add_f64 v[76:77], v[82:83], v[18:19]
	v_mul_f64 v[18:19], v[46:47], s[40:41]
	v_fma_f64 v[82:83], s[16:17], v[38:39], v[84:85]
	v_add_f64 v[88:89], v[88:89], v[92:93]
	v_mul_f64 v[92:93], v[222:223], s[52:53]
	v_fma_f64 v[236:237], v[198:199], s[22:23], -v[100:101]
	v_add_f64 v[146:147], v[242:243], v[146:147]
	v_fma_f64 v[80:81], s[18:19], v[28:29], v[18:19]
	v_add_f64 v[82:83], v[82:83], v[88:89]
	v_mul_f64 v[88:89], v[220:221], s[40:41]
	v_fma_f64 v[96:97], v[196:197], s[16:17], -v[92:93]
	v_add_f64 v[146:147], v[236:237], v[146:147]
	v_add_f64 v[82:83], v[80:81], v[82:83]
	v_fma_f64 v[80:81], v[190:191], s[18:19], -v[88:89]
	v_add_f64 v[96:97], v[96:97], v[146:147]
	v_add_f64 v[80:81], v[80:81], v[96:97]
	v_fma_f64 v[96:97], v[178:179], s[10:11], -v[98:99]
	v_fma_f64 v[98:99], v[188:189], s[28:29], -v[104:105]
	v_fma_f64 v[104:105], v[114:115], s[0:1], -v[238:239]
	v_add_f64 v[104:105], v[182:183], v[104:105]
	v_add_f64 v[98:99], v[98:99], v[104:105]
	v_fma_f64 v[94:95], v[192:193], s[24:25], -v[94:95]
	v_add_f64 v[96:97], v[96:97], v[98:99]
	v_fma_f64 v[90:91], v[184:185], s[12:13], -v[90:91]
	;; [unrolled: 2-line block ×5, first 2 shown]
	v_add_f64 v[84:85], v[84:85], v[86:87]
	v_fmac_f64_e32 v[144:145], s[0:1], v[216:217]
	v_add_f64 v[86:87], v[18:19], v[84:85]
	v_fmac_f64_e32 v[110:111], s[28:29], v[214:215]
	;; [unrolled: 2-line block ×5, first 2 shown]
	v_add_f64 v[18:19], v[246:247], v[18:19]
	v_add_f64 v[18:19], v[240:241], v[18:19]
	v_mul_f64 v[240:241], v[218:219], s[48:49]
	v_accvgpr_write_b32 a62, v156
	s_mov_b32 s47, 0x3fc7851a
	s_mov_b32 s46, s34
	v_mul_f64 v[236:237], v[208:209], s[20:21]
	v_fma_f64 v[242:243], s[12:13], v[114:115], v[240:241]
	v_accvgpr_write_b32 a58, v148
	v_accvgpr_write_b32 a63, v157
	;; [unrolled: 1-line block ×4, first 2 shown]
	v_mul_f64 v[156:157], v[234:235], s[48:49]
	v_mul_f64 v[144:145], v[202:203], s[46:47]
	v_fma_f64 v[238:239], s[16:17], v[188:189], v[236:237]
	v_add_f64 v[242:243], v[182:183], v[242:243]
	v_accvgpr_write_b32 a59, v149
	v_accvgpr_write_b32 a60, v150
	;; [unrolled: 1-line block ×3, first 2 shown]
	v_mul_f64 v[148:149], v[232:233], s[20:21]
	v_fma_f64 v[158:159], v[216:217], s[12:13], -v[156:157]
	v_mul_f64 v[104:105], v[194:195], s[50:51]
	v_fma_f64 v[146:147], s[28:29], v[178:179], v[144:145]
	v_add_f64 v[238:239], v[238:239], v[242:243]
	v_mul_f64 v[252:253], v[230:231], s[46:47]
	v_fma_f64 v[150:151], v[214:215], s[16:17], -v[148:149]
	v_add_f64 v[158:159], v[180:181], v[158:159]
	v_fmac_f64_e32 v[100:101], s[22:23], v[198:199]
	v_mul_f64 v[98:99], v[200:201], s[40:41]
	v_fma_f64 v[110:111], s[10:11], v[192:193], v[104:105]
	v_add_f64 v[146:147], v[146:147], v[238:239]
	v_mul_f64 v[248:249], v[228:229], s[50:51]
	v_fma_f64 v[254:255], v[212:213], s[28:29], -v[252:253]
	v_add_f64 v[150:151], v[150:151], v[158:159]
	v_fmac_f64_e32 v[92:93], s[16:17], v[196:197]
	v_add_f64 v[18:19], v[100:101], v[18:19]
	v_mul_f64 v[94:95], v[204:205], s[38:39]
	v_fma_f64 v[100:101], s[18:19], v[184:185], v[98:99]
	v_add_f64 v[110:111], v[110:111], v[146:147]
	v_mul_f64 v[242:243], v[226:227], s[40:41]
	v_fma_f64 v[250:251], v[210:211], s[10:11], -v[248:249]
	v_add_f64 v[150:151], v[254:255], v[150:151]
	v_fmac_f64_e32 v[88:89], s[18:19], v[190:191]
	v_add_f64 v[18:19], v[92:93], v[18:19]
	v_mul_f64 v[92:93], v[154:155], s[42:43]
	v_fma_f64 v[96:97], s[24:25], v[152:153], v[94:95]
	v_add_f64 v[100:101], v[100:101], v[110:111]
	v_mul_f64 v[146:147], v[224:225], s[38:39]
	v_fma_f64 v[246:247], v[206:207], s[18:19], -v[242:243]
	v_add_f64 v[150:151], v[250:251], v[150:151]
	v_add_f64 v[84:85], v[88:89], v[18:19]
	v_mul_f64 v[18:19], v[46:47], s[26:27]
	v_fma_f64 v[90:91], s[0:1], v[38:39], v[92:93]
	v_add_f64 v[96:97], v[96:97], v[100:101]
	v_mul_f64 v[100:101], v[222:223], s[42:43]
	v_fma_f64 v[238:239], v[198:199], s[24:25], -v[146:147]
	v_add_f64 v[150:151], v[246:247], v[150:151]
	v_fma_f64 v[88:89], s[22:23], v[28:29], v[18:19]
	v_add_f64 v[90:91], v[90:91], v[96:97]
	v_mul_f64 v[96:97], v[220:221], s[26:27]
	v_fma_f64 v[110:111], v[196:197], s[0:1], -v[100:101]
	v_add_f64 v[150:151], v[238:239], v[150:151]
	v_add_f64 v[90:91], v[88:89], v[90:91]
	v_fma_f64 v[88:89], v[190:191], s[22:23], -v[96:97]
	v_add_f64 v[110:111], v[110:111], v[150:151]
	v_fma_f64 v[150:151], v[114:115], s[12:13], -v[240:241]
	;; [unrolled: 2-line block ×3, first 2 shown]
	v_fma_f64 v[144:145], v[188:189], s[16:17], -v[236:237]
	v_add_f64 v[150:151], v[182:183], v[150:151]
	v_add_f64 v[144:145], v[144:145], v[150:151]
	v_fma_f64 v[104:105], v[192:193], s[10:11], -v[104:105]
	v_add_f64 v[110:111], v[110:111], v[144:145]
	v_fma_f64 v[98:99], v[184:185], s[18:19], -v[98:99]
	v_add_f64 v[104:105], v[104:105], v[110:111]
	v_fma_f64 v[94:95], v[152:153], s[24:25], -v[94:95]
	v_add_f64 v[98:99], v[98:99], v[104:105]
	v_fma_f64 v[92:93], v[38:39], s[0:1], -v[92:93]
	v_add_f64 v[94:95], v[94:95], v[98:99]
	v_fma_f64 v[18:19], v[28:29], s[22:23], -v[18:19]
	v_add_f64 v[92:93], v[92:93], v[94:95]
	v_fmac_f64_e32 v[156:157], s[12:13], v[216:217]
	v_add_f64 v[98:99], v[18:19], v[92:93]
	v_fmac_f64_e32 v[148:149], s[16:17], v[214:215]
	;; [unrolled: 2-line block ×5, first 2 shown]
	v_add_f64 v[18:19], v[248:249], v[18:19]
	v_mul_f64 v[240:241], v[218:219], s[44:45]
	v_accvgpr_write_b32 a70, v164
	v_accvgpr_read_b32 v245, a66
	v_add_f64 v[18:19], v[242:243], v[18:19]
	v_mul_f64 v[236:237], v[208:209], s[42:43]
	v_fma_f64 v[242:243], s[18:19], v[114:115], v[240:241]
	v_accvgpr_write_b32 a66, v160
	v_accvgpr_write_b32 a71, v165
	v_accvgpr_write_b32 a72, v166
	v_accvgpr_write_b32 a73, v167
	v_mul_f64 v[164:165], v[234:235], s[44:45]
	v_mul_f64 v[156:157], v[202:203], s[20:21]
	v_fma_f64 v[238:239], s[0:1], v[188:189], v[236:237]
	v_add_f64 v[242:243], v[182:183], v[242:243]
	v_accvgpr_write_b32 a67, v161
	v_accvgpr_write_b32 a68, v162
	v_accvgpr_write_b32 a69, v163
	v_mul_f64 v[160:161], v[232:233], s[42:43]
	v_fma_f64 v[166:167], v[216:217], s[18:19], -v[164:165]
	v_mul_f64 v[148:149], v[194:195], s[34:35]
	v_fma_f64 v[158:159], s[16:17], v[178:179], v[156:157]
	v_add_f64 v[238:239], v[238:239], v[242:243]
	v_mul_f64 v[252:253], v[230:231], s[20:21]
	v_fma_f64 v[162:163], v[214:215], s[0:1], -v[160:161]
	v_add_f64 v[166:167], v[180:181], v[166:167]
	v_fmac_f64_e32 v[146:147], s[24:25], v[198:199]
	v_mul_f64 v[144:145], v[200:201], s[54:55]
	v_fma_f64 v[150:151], s[28:29], v[192:193], v[148:149]
	v_add_f64 v[158:159], v[158:159], v[238:239]
	v_mul_f64 v[248:249], v[228:229], s[34:35]
	v_fma_f64 v[254:255], v[212:213], s[16:17], -v[252:253]
	v_add_f64 v[162:163], v[162:163], v[166:167]
	v_fmac_f64_e32 v[100:101], s[0:1], v[196:197]
	v_add_f64 v[18:19], v[146:147], v[18:19]
	v_mul_f64 v[104:105], v[204:205], s[50:51]
	v_fma_f64 v[146:147], s[22:23], v[184:185], v[144:145]
	v_add_f64 v[150:151], v[150:151], v[158:159]
	v_mul_f64 v[242:243], v[226:227], s[54:55]
	v_fma_f64 v[250:251], v[210:211], s[28:29], -v[248:249]
	v_add_f64 v[162:163], v[254:255], v[162:163]
	v_fmac_f64_e32 v[96:97], s[22:23], v[190:191]
	v_add_f64 v[18:19], v[100:101], v[18:19]
	v_mul_f64 v[100:101], v[154:155], s[30:31]
	v_fma_f64 v[110:111], s[10:11], v[152:153], v[104:105]
	v_add_f64 v[146:147], v[146:147], v[150:151]
	v_mul_f64 v[158:159], v[224:225], s[50:51]
	v_fma_f64 v[246:247], v[206:207], s[22:23], -v[242:243]
	v_add_f64 v[162:163], v[250:251], v[162:163]
	v_add_f64 v[96:97], v[96:97], v[18:19]
	v_mul_f64 v[18:19], v[46:47], s[36:37]
	v_fma_f64 v[94:95], s[12:13], v[38:39], v[100:101]
	v_add_f64 v[110:111], v[110:111], v[146:147]
	v_mul_f64 v[146:147], v[222:223], s[30:31]
	v_fma_f64 v[238:239], v[198:199], s[10:11], -v[158:159]
	v_add_f64 v[162:163], v[246:247], v[162:163]
	v_fma_f64 v[92:93], s[24:25], v[28:29], v[18:19]
	v_add_f64 v[94:95], v[94:95], v[110:111]
	v_mul_f64 v[110:111], v[220:221], s[36:37]
	v_fma_f64 v[150:151], v[196:197], s[12:13], -v[146:147]
	v_add_f64 v[162:163], v[238:239], v[162:163]
	v_add_f64 v[94:95], v[92:93], v[94:95]
	v_fma_f64 v[92:93], v[190:191], s[24:25], -v[110:111]
	v_add_f64 v[150:151], v[150:151], v[162:163]
	v_fma_f64 v[162:163], v[114:115], s[18:19], -v[240:241]
	v_add_f64 v[92:93], v[92:93], v[150:151]
	v_fma_f64 v[150:151], v[178:179], s[16:17], -v[156:157]
	v_fma_f64 v[156:157], v[188:189], s[0:1], -v[236:237]
	v_add_f64 v[162:163], v[182:183], v[162:163]
	v_add_f64 v[156:157], v[156:157], v[162:163]
	v_fma_f64 v[148:149], v[192:193], s[28:29], -v[148:149]
	v_add_f64 v[150:151], v[150:151], v[156:157]
	v_fma_f64 v[144:145], v[184:185], s[22:23], -v[144:145]
	;; [unrolled: 2-line block ×5, first 2 shown]
	v_add_f64 v[100:101], v[100:101], v[104:105]
	v_fmac_f64_e32 v[164:165], s[18:19], v[216:217]
	v_add_f64 v[238:239], v[18:19], v[100:101]
	v_fmac_f64_e32 v[160:161], s[0:1], v[214:215]
	v_add_f64 v[18:19], v[180:181], v[164:165]
	v_fmac_f64_e32 v[252:253], s[16:17], v[212:213]
	v_add_f64 v[18:19], v[160:161], v[18:19]
	v_fmac_f64_e32 v[248:249], s[28:29], v[210:211]
	v_add_f64 v[18:19], v[252:253], v[18:19]
	v_mul_f64 v[164:165], v[218:219], s[38:39]
	v_fmac_f64_e32 v[242:243], s[22:23], v[206:207]
	v_add_f64 v[18:19], v[248:249], v[18:19]
	v_mul_f64 v[160:161], v[208:209], s[44:45]
	v_fma_f64 v[166:167], s[24:25], v[114:115], v[164:165]
	v_fmac_f64_e32 v[158:159], s[10:11], v[198:199]
	v_add_f64 v[18:19], v[242:243], v[18:19]
	v_mul_f64 v[156:157], v[202:203], s[48:49]
	v_fma_f64 v[162:163], s[18:19], v[188:189], v[160:161]
	v_add_f64 v[166:167], v[182:183], v[166:167]
	v_fmac_f64_e32 v[146:147], s[12:13], v[196:197]
	v_add_f64 v[18:19], v[158:159], v[18:19]
	v_mul_f64 v[150:151], v[194:195], s[42:43]
	v_fma_f64 v[158:159], s[12:13], v[178:179], v[156:157]
	v_add_f64 v[162:163], v[162:163], v[166:167]
	v_fmac_f64_e32 v[110:111], s[24:25], v[190:191]
	v_add_f64 v[18:19], v[146:147], v[18:19]
	v_mul_f64 v[100:101], v[154:155], s[26:27]
	v_mul_f64 v[146:147], v[200:201], s[14:15]
	v_fma_f64 v[154:155], s[0:1], v[192:193], v[150:151]
	v_add_f64 v[158:159], v[158:159], v[162:163]
	v_add_f64 v[236:237], v[110:111], v[18:19]
	v_mul_f64 v[110:111], v[204:205], s[20:21]
	v_fma_f64 v[148:149], s[10:11], v[184:185], v[146:147]
	v_add_f64 v[154:155], v[154:155], v[158:159]
	v_fma_f64 v[144:145], s[16:17], v[152:153], v[110:111]
	v_add_f64 v[148:149], v[148:149], v[154:155]
	;; [unrolled: 2-line block ×3, first 2 shown]
	v_mul_f64 v[18:19], v[46:47], s[34:35]
	v_add_f64 v[104:105], v[104:105], v[144:145]
	v_mul_f64 v[144:145], v[222:223], s[26:27]
	v_mul_f64 v[222:223], v[234:235], s[38:39]
	v_fma_f64 v[46:47], s[28:29], v[28:29], v[18:19]
	v_mul_f64 v[158:159], v[224:225], s[20:21]
	v_mul_f64 v[218:219], v[232:233], s[44:45]
	v_fma_f64 v[224:225], v[216:217], s[24:25], -v[222:223]
	v_add_f64 v[202:203], v[46:47], v[104:105]
	v_mul_f64 v[46:47], v[220:221], s[34:35]
	v_mul_f64 v[204:205], v[230:231], s[48:49]
	v_fma_f64 v[220:221], v[214:215], s[18:19], -v[218:219]
	v_add_f64 v[224:225], v[180:181], v[224:225]
	v_mul_f64 v[194:195], v[228:229], s[42:43]
	v_fma_f64 v[208:209], v[212:213], s[12:13], -v[204:205]
	v_add_f64 v[220:221], v[220:221], v[224:225]
	;; [unrolled: 3-line block ×3, first 2 shown]
	v_fma_f64 v[166:167], v[206:207], s[10:11], -v[162:163]
	v_add_f64 v[200:201], v[200:201], v[208:209]
	v_fma_f64 v[154:155], v[198:199], s[16:17], -v[158:159]
	v_add_f64 v[166:167], v[166:167], v[200:201]
	v_fma_f64 v[114:115], v[114:115], s[24:25], -v[164:165]
	v_fma_f64 v[148:149], v[196:197], s[22:23], -v[144:145]
	v_add_f64 v[154:155], v[154:155], v[166:167]
	v_fma_f64 v[18:19], v[28:29], s[28:29], -v[18:19]
	v_fma_f64 v[28:29], v[38:39], s[22:23], -v[100:101]
	;; [unrolled: 1-line block ×4, first 2 shown]
	v_add_f64 v[114:115], v[182:183], v[114:115]
	v_fma_f64 v[104:105], v[190:191], s[28:29], -v[46:47]
	v_add_f64 v[148:149], v[148:149], v[154:155]
	v_fma_f64 v[38:39], v[152:153], s[16:17], -v[110:111]
	v_fma_f64 v[110:111], v[178:179], s[12:13], -v[156:157]
	v_add_f64 v[114:115], v[146:147], v[114:115]
	v_add_f64 v[200:201], v[104:105], v[148:149]
	v_fma_f64 v[104:105], v[192:193], s[0:1], -v[150:151]
	v_add_f64 v[110:111], v[110:111], v[114:115]
	v_add_f64 v[104:105], v[104:105], v[110:111]
	;; [unrolled: 1-line block ×5, first 2 shown]
	v_fmac_f64_e32 v[222:223], s[24:25], v[216:217]
	v_add_f64 v[154:155], v[18:19], v[28:29]
	v_fmac_f64_e32 v[218:219], s[18:19], v[214:215]
	v_add_f64 v[18:19], v[180:181], v[222:223]
	;; [unrolled: 2-line block ×8, first 2 shown]
	v_add_f64 v[152:153], v[46:47], v[18:19]
	v_add_f64 v[18:19], v[182:183], v[118:119]
	;; [unrolled: 1-line block ×5, first 2 shown]
	v_accvgpr_write_b32 a77, v25
	v_add_f64 v[16:17], v[16:17], v[36:37]
	v_accvgpr_read_b32 v18, a80
	v_accvgpr_write_b32 a76, v24
	v_add_f64 v[16:17], v[16:17], v[26:27]
	v_accvgpr_read_b32 v19, a81
	v_add_f64 v[16:17], v[16:17], v[18:19]
	v_accvgpr_read_b32 v18, a76
	v_accvgpr_read_b32 v19, a77
	v_add_f64 v[16:17], v[16:17], v[18:19]
	v_accvgpr_read_b32 v18, a74
	;; [unrolled: 3-line block ×4, first 2 shown]
	v_accvgpr_read_b32 v19, a83
	v_add_f64 v[16:17], v[16:17], v[18:19]
	v_add_f64 v[16:17], v[16:17], v[34:35]
	;; [unrolled: 1-line block ×20, first 2 shown]
	v_accvgpr_read_b32 v24, a49
	v_accvgpr_read_b32 v151, a61
	;; [unrolled: 1-line block ×6, first 2 shown]
	v_add_f64 v[6:7], v[0:1], v[108:109]
	v_accvgpr_read_b32 v109, a1
	v_mul_u32_u24_e32 v0, 51, v245
	v_accvgpr_read_b32 v150, a60
	v_accvgpr_read_b32 v149, a59
	;; [unrolled: 1-line block ×16, first 2 shown]
	v_add_f64 v[8:9], v[8:9], v[112:113]
	v_accvgpr_read_b32 v108, a0
	v_add_lshl_u32 v0, v0, v24, 4
	ds_write_b128 v0, v[6:9]
	ds_write_b128 v0, v[152:155] offset:48
	ds_write_b128 v0, v[236:239] offset:96
	;; [unrolled: 1-line block ×16, first 2 shown]
.LBB0_21:
	s_or_b64 exec, exec, s[2:3]
	s_waitcnt lgkmcnt(0)
	; wave barrier
	s_waitcnt lgkmcnt(0)
	ds_read_b128 v[6:9], v244
	ds_read_b128 v[48:51], v244 offset:816
	ds_read_b128 v[10:13], v244 offset:1632
	;; [unrolled: 1-line block ×13, first 2 shown]
	s_waitcnt lgkmcnt(11)
	v_mul_f64 v[46:47], v[138:139], v[12:13]
	v_fmac_f64_e32 v[46:47], v[136:137], v[10:11]
	v_mul_f64 v[10:11], v[138:139], v[10:11]
	v_fma_f64 v[10:11], v[136:137], v[12:13], -v[10:11]
	s_waitcnt lgkmcnt(9)
	v_mul_f64 v[12:13], v[130:131], v[20:21]
	v_fmac_f64_e32 v[12:13], v[128:129], v[18:19]
	v_mul_f64 v[18:19], v[130:131], v[18:19]
	v_fma_f64 v[18:19], v[128:129], v[20:21], -v[18:19]
	;; [unrolled: 5-line block ×6, first 2 shown]
	v_mul_f64 v[58:59], v[138:139], v[16:17]
	v_fmac_f64_e32 v[58:59], v[136:137], v[14:15]
	v_mul_f64 v[14:15], v[138:139], v[14:15]
	v_fma_f64 v[64:65], v[136:137], v[16:17], -v[14:15]
	v_mul_f64 v[14:15], v[130:131], v[22:23]
	v_fma_f64 v[68:69], v[128:129], v[24:25], -v[14:15]
	v_mul_f64 v[70:71], v[126:127], v[32:33]
	v_mul_f64 v[14:15], v[126:127], v[30:31]
	v_fmac_f64_e32 v[70:71], v[124:125], v[30:31]
	v_fma_f64 v[30:31], v[124:125], v[32:33], -v[14:15]
	v_mul_f64 v[32:33], v[122:123], v[40:41]
	v_mul_f64 v[14:15], v[122:123], v[38:39]
	v_fmac_f64_e32 v[32:33], v[120:121], v[38:39]
	v_fma_f64 v[38:39], v[120:121], v[40:41], -v[14:15]
	v_mul_f64 v[14:15], v[142:143], v[52:53]
	v_fma_f64 v[72:73], v[140:141], v[54:55], -v[14:15]
	s_waitcnt lgkmcnt(0)
	v_mul_f64 v[74:75], v[134:135], v[62:63]
	v_mul_f64 v[14:15], v[134:135], v[60:61]
	;; [unrolled: 1-line block ×3, first 2 shown]
	v_fmac_f64_e32 v[74:75], v[132:133], v[60:61]
	v_fma_f64 v[60:61], v[132:133], v[62:63], -v[14:15]
	v_add_f64 v[14:15], v[46:47], v[44:45]
	v_add_f64 v[24:25], v[12:13], v[36:37]
	v_accvgpr_read_b32 v82, a48
	v_fmac_f64_e32 v[66:67], v[128:129], v[22:23]
	v_mul_f64 v[40:41], v[142:143], v[54:55]
	v_add_f64 v[16:17], v[10:11], v[56:57]
	v_add_f64 v[22:23], v[46:47], -v[44:45]
	v_add_f64 v[44:45], v[18:19], v[42:43]
	v_add_f64 v[12:13], v[12:13], -v[36:37]
	v_add_f64 v[36:37], v[20:21], v[28:29]
	v_add_f64 v[20:21], v[28:29], -v[20:21]
	v_add_f64 v[28:29], v[24:25], v[14:15]
	v_mad_u64_u32 v[2:3], s[0:1], s6, v82, 0
	v_fmac_f64_e32 v[40:41], v[140:141], v[52:53]
	v_add_f64 v[18:19], v[18:19], -v[42:43]
	v_add_f64 v[42:43], v[26:27], v[34:35]
	v_add_f64 v[26:27], v[34:35], -v[26:27]
	v_add_f64 v[34:35], v[44:45], v[16:17]
	v_add_f64 v[52:53], v[20:21], v[12:13]
	;; [unrolled: 1-line block ×3, first 2 shown]
	v_mov_b32_e32 v0, s8
	v_mov_b32_e32 v1, s9
	v_add_f64 v[10:11], v[10:11], -v[56:57]
	v_add_f64 v[54:55], v[26:27], v[18:19]
	v_add_f64 v[62:63], v[20:21], -v[12:13]
	v_add_f64 v[20:21], v[22:23], -v[20:21]
	;; [unrolled: 1-line block ×3, first 2 shown]
	v_add_f64 v[34:35], v[42:43], v[34:35]
	v_add_f64 v[22:23], v[52:53], v[22:23]
	v_add_f64 v[52:53], v[6:7], v[28:29]
	s_mov_b32 s2, 0x37e14327
	s_mov_b32 s0, 0x36b3c0b5
	s_mov_b32 s10, 0xe976ee23
	s_mov_b32 s8, 0x429ad128
	s_mov_b32 s12, 0xaaaaaaaa
	v_add_f64 v[46:47], v[24:25], -v[14:15]
	v_add_f64 v[56:57], v[44:45], -v[16:17]
	;; [unrolled: 1-line block ×8, first 2 shown]
	v_add_f64 v[10:11], v[54:55], v[10:11]
	v_add_f64 v[54:55], v[8:9], v[34:35]
	s_mov_b32 s3, 0x3fe948f6
	s_mov_b32 s1, 0x3fac98ee
	;; [unrolled: 1-line block ×5, first 2 shown]
	v_mov_b64_e32 v[78:79], v[52:53]
	s_mov_b32 s14, 0x5476071b
	s_mov_b32 s18, 0xb247c609
	v_add_f64 v[44:45], v[42:43], -v[44:45]
	v_mul_f64 v[6:7], v[14:15], s[2:3]
	v_mul_f64 v[8:9], v[16:17], s[2:3]
	;; [unrolled: 1-line block ×7, first 2 shown]
	v_fmac_f64_e32 v[78:79], s[12:13], v[28:29]
	v_mov_b64_e32 v[28:29], v[54:55]
	s_mov_b32 s15, 0x3fe77f67
	s_mov_b32 s17, 0xbfe77f67
	;; [unrolled: 1-line block ×7, first 2 shown]
	v_mul_f64 v[16:17], v[44:45], s[0:1]
	v_fmac_f64_e32 v[28:29], s[12:13], v[34:35]
	v_fma_f64 v[14:15], v[46:47], s[14:15], -v[14:15]
	v_fma_f64 v[34:35], v[46:47], s[16:17], -v[6:7]
	v_fmac_f64_e32 v[6:7], s[0:1], v[24:25]
	v_fma_f64 v[24:25], v[56:57], s[16:17], -v[8:9]
	v_fma_f64 v[18:19], v[18:19], s[8:9], -v[42:43]
	;; [unrolled: 3-line block ×3, first 2 shown]
	s_mov_b32 s21, 0xbfdc38aa
	v_fma_f64 v[16:17], v[56:57], s[14:15], -v[16:17]
	v_fmac_f64_e32 v[8:9], s[0:1], v[44:45]
	v_fma_f64 v[44:45], v[12:13], s[8:9], -v[36:37]
	v_fmac_f64_e32 v[36:37], s[18:19], v[20:21]
	v_add_f64 v[34:35], v[34:35], v[78:79]
	v_add_f64 v[24:25], v[24:25], v[28:29]
	v_fmac_f64_e32 v[46:47], s[20:21], v[22:23]
	v_fmac_f64_e32 v[26:27], s[20:21], v[10:11]
	v_add_f64 v[56:57], v[6:7], v[78:79]
	v_add_f64 v[62:63], v[8:9], v[28:29]
	;; [unrolled: 1-line block ×4, first 2 shown]
	v_fmac_f64_e32 v[36:37], s[20:21], v[22:23]
	v_fmac_f64_e32 v[42:43], s[20:21], v[10:11]
	;; [unrolled: 1-line block ×4, first 2 shown]
	v_add_f64 v[10:11], v[26:27], v[34:35]
	v_add_f64 v[12:13], v[24:25], -v[46:47]
	v_add_f64 v[22:23], v[34:35], -v[26:27]
	v_add_f64 v[24:25], v[46:47], v[24:25]
	v_add_f64 v[34:35], v[58:59], v[74:75]
	;; [unrolled: 1-line block ×4, first 2 shown]
	v_add_f64 v[8:9], v[62:63], -v[36:37]
	v_add_f64 v[14:15], v[20:21], -v[18:19]
	v_add_f64 v[16:17], v[44:45], v[76:77]
	v_add_f64 v[18:19], v[18:19], v[20:21]
	v_add_f64 v[20:21], v[76:77], -v[44:45]
	v_add_f64 v[26:27], v[56:57], -v[42:43]
	v_add_f64 v[28:29], v[36:37], v[62:63]
	v_add_f64 v[36:37], v[64:65], v[60:61]
	v_add_f64 v[44:45], v[64:65], -v[60:61]
	v_add_f64 v[56:57], v[68:69], v[72:73]
	v_add_f64 v[60:61], v[70:71], v[32:33]
	;; [unrolled: 1-line block ×3, first 2 shown]
	v_add_f64 v[30:31], v[38:39], -v[30:31]
	v_add_f64 v[38:39], v[46:47], v[34:35]
	v_add_f64 v[42:43], v[58:59], -v[74:75]
	v_add_f64 v[40:41], v[66:67], -v[40:41]
	;; [unrolled: 1-line block ×4, first 2 shown]
	v_add_f64 v[64:65], v[56:57], v[36:37]
	v_add_f64 v[38:39], v[60:61], v[38:39]
	v_add_f64 v[66:67], v[46:47], -v[34:35]
	v_add_f64 v[34:35], v[34:35], -v[60:61]
	v_add_f64 v[46:47], v[60:61], -v[46:47]
	v_add_f64 v[72:73], v[30:31], v[58:59]
	v_add_f64 v[74:75], v[32:33], -v[40:41]
	v_add_f64 v[76:77], v[30:31], -v[58:59]
	;; [unrolled: 1-line block ×3, first 2 shown]
	v_add_f64 v[60:61], v[62:63], v[64:65]
	v_add_f64 v[30:31], v[48:49], v[38:39]
	v_add_f64 v[68:69], v[56:57], -v[36:37]
	v_add_f64 v[36:37], v[36:37], -v[62:63]
	v_add_f64 v[56:57], v[62:63], -v[56:57]
	v_add_f64 v[70:71], v[32:33], v[40:41]
	v_add_f64 v[78:79], v[42:43], -v[32:33]
	v_add_f64 v[40:41], v[40:41], -v[42:43]
	;; [unrolled: 1-line block ×3, first 2 shown]
	v_add_f64 v[32:33], v[50:51], v[60:61]
	v_mul_f64 v[62:63], v[74:75], s[10:11]
	v_mov_b64_e32 v[74:75], v[30:31]
	v_add_f64 v[42:43], v[70:71], v[42:43]
	v_add_f64 v[44:45], v[72:73], v[44:45]
	v_mul_f64 v[34:35], v[34:35], s[2:3]
	v_mul_f64 v[36:37], v[36:37], s[2:3]
	;; [unrolled: 1-line block ×7, first 2 shown]
	v_fmac_f64_e32 v[74:75], s[12:13], v[38:39]
	v_mov_b64_e32 v[38:39], v[32:33]
	v_fmac_f64_e32 v[38:39], s[12:13], v[60:61]
	v_fma_f64 v[46:47], s[0:1], v[46:47], v[34:35]
	v_fma_f64 v[48:49], v[66:67], s[14:15], -v[48:49]
	v_fma_f64 v[50:51], v[68:69], s[14:15], -v[50:51]
	;; [unrolled: 1-line block ×4, first 2 shown]
	v_fmac_f64_e32 v[36:37], s[0:1], v[56:57]
	v_fma_f64 v[66:67], s[18:19], v[78:79], v[62:63]
	v_fma_f64 v[56:57], v[40:41], s[8:9], -v[62:63]
	v_fma_f64 v[58:59], v[58:59], s[8:9], -v[64:65]
	v_fmac_f64_e32 v[64:65], s[18:19], v[80:81]
	v_fma_f64 v[62:63], v[78:79], s[22:23], -v[70:71]
	v_fma_f64 v[68:69], v[80:81], s[22:23], -v[72:73]
	v_add_f64 v[70:71], v[46:47], v[74:75]
	v_add_f64 v[72:73], v[36:37], v[38:39]
	;; [unrolled: 1-line block ×6, first 2 shown]
	v_fmac_f64_e32 v[66:67], s[20:21], v[42:43]
	v_fmac_f64_e32 v[64:65], s[20:21], v[44:45]
	;; [unrolled: 1-line block ×6, first 2 shown]
	v_add_f64 v[34:35], v[64:65], v[70:71]
	v_add_f64 v[36:37], v[72:73], -v[66:67]
	v_add_f64 v[38:39], v[68:69], v[50:51]
	v_add_f64 v[40:41], v[60:61], -v[62:63]
	v_add_f64 v[42:43], v[46:47], -v[58:59]
	v_add_f64 v[44:45], v[56:57], v[48:49]
	v_add_f64 v[46:47], v[58:59], v[46:47]
	v_add_f64 v[48:49], v[48:49], -v[56:57]
	v_add_f64 v[56:57], v[50:51], -v[68:69]
	v_add_f64 v[58:59], v[62:63], v[60:61]
	v_add_f64 v[60:61], v[70:71], -v[64:65]
	v_add_f64 v[62:63], v[66:67], v[72:73]
	s_waitcnt lgkmcnt(0)
	; wave barrier
	ds_write_b128 v244, v[52:55]
	ds_write_b128 v244, v[6:9] offset:816
	ds_write_b128 v244, v[10:13] offset:1632
	;; [unrolled: 1-line block ×13, first 2 shown]
	s_waitcnt lgkmcnt(0)
	; wave barrier
	s_waitcnt lgkmcnt(0)
	ds_read_b128 v[6:9], v244 offset:5712
	ds_read_b128 v[10:13], v244
	ds_read_b128 v[14:17], v244 offset:816
	ds_read_b128 v[18:21], v244 offset:6528
	;; [unrolled: 1-line block ×12, first 2 shown]
	s_waitcnt lgkmcnt(13)
	v_mul_f64 v[62:63], v[146:147], v[8:9]
	v_fmac_f64_e32 v[62:63], v[144:145], v[6:7]
	v_mul_f64 v[6:7], v[146:147], v[6:7]
	v_fma_f64 v[8:9], v[144:145], v[8:9], -v[6:7]
	s_waitcnt lgkmcnt(10)
	v_mul_f64 v[6:7], v[150:151], v[18:19]
	v_mul_f64 v[64:65], v[150:151], v[20:21]
	v_fma_f64 v[20:21], v[148:149], v[20:21], -v[6:7]
	s_waitcnt lgkmcnt(9)
	v_mul_f64 v[6:7], v[158:159], v[22:23]
	;; [unrolled: 4-line block ×6, first 2 shown]
	v_mul_f64 v[6:7], v[174:175], v[58:59]
	v_fmac_f64_e32 v[64:65], v[148:149], v[18:19]
	v_fmac_f64_e32 v[66:67], v[156:157], v[22:23]
	;; [unrolled: 1-line block ×6, first 2 shown]
	v_fma_f64 v[60:61], v[172:173], v[60:61], -v[6:7]
	v_add_f64 v[6:7], v[10:11], -v[62:63]
	v_add_f64 v[8:9], v[12:13], -v[8:9]
	v_fma_f64 v[10:11], v[10:11], 2.0, -v[6:7]
	v_fma_f64 v[12:13], v[12:13], 2.0, -v[8:9]
	v_add_f64 v[18:19], v[14:15], -v[64:65]
	v_add_f64 v[20:21], v[16:17], -v[20:21]
	;; [unrolled: 1-line block ×12, first 2 shown]
	v_fma_f64 v[14:15], v[14:15], 2.0, -v[18:19]
	v_fma_f64 v[16:17], v[16:17], 2.0, -v[20:21]
	;; [unrolled: 1-line block ×12, first 2 shown]
	ds_write_b128 v244, v[10:13]
	ds_write_b128 v244, v[6:9] offset:5712
	ds_write_b128 v244, v[14:17] offset:816
	;; [unrolled: 1-line block ×13, first 2 shown]
	s_waitcnt lgkmcnt(0)
	; wave barrier
	s_waitcnt lgkmcnt(0)
	ds_read_b128 v[6:9], v244
	ds_read_b128 v[10:13], v244 offset:816
	v_mov_b32_e32 v4, v3
	v_accvgpr_read_b32 v14, a16
	v_mad_u64_u32 v[4:5], s[0:1], s7, v82, v[4:5]
	v_accvgpr_read_b32 v16, a18
	v_accvgpr_read_b32 v17, a19
	v_mov_b32_e32 v3, v4
	v_accvgpr_read_b32 v15, a17
	s_waitcnt lgkmcnt(1)
	v_mul_f64 v[4:5], v[16:17], v[8:9]
	v_fmac_f64_e32 v[4:5], v[14:15], v[6:7]
	v_mul_f64 v[6:7], v[16:17], v[6:7]
	v_fma_f64 v[6:7], v[14:15], v[8:9], -v[6:7]
	v_mad_u64_u32 v[8:9], s[2:3], s4, v110, 0
	v_mov_b32_e32 v14, v9
	v_mad_u64_u32 v[14:15], s[2:3], s5, v110, v[14:15]
	v_mov_b32_e32 v9, v14
	ds_read_b128 v[14:17], v244 offset:3808
	s_mov_b32 s0, 0x16f26017
	s_mov_b32 s1, 0x3f56f260
	v_lshl_add_u64 v[0:1], v[2:3], 4, v[0:1]
	v_accvgpr_read_b32 v21, a7
	v_mul_f64 v[4:5], v[4:5], s[0:1]
	v_mul_f64 v[6:7], v[6:7], s[0:1]
	v_lshl_add_u64 v[8:9], v[8:9], 4, v[0:1]
	ds_read_b128 v[0:3], v244 offset:4624
	v_accvgpr_read_b32 v20, a6
	global_store_dwordx4 v[8:9], v[4:7], off
	v_accvgpr_read_b32 v19, a5
	v_accvgpr_read_b32 v18, a4
	s_waitcnt lgkmcnt(1)
	v_mul_f64 v[4:5], v[20:21], v[16:17]
	v_mul_f64 v[6:7], v[20:21], v[14:15]
	v_fmac_f64_e32 v[4:5], v[18:19], v[14:15]
	v_fma_f64 v[6:7], v[18:19], v[16:17], -v[6:7]
	ds_read_b128 v[14:17], v244 offset:7616
	s_mul_i32 s2, s5, 0xee
	s_mul_hi_u32 s3, s4, 0xee
	s_add_i32 s3, s3, s2
	s_mul_i32 s2, s4, 0xee
	s_lshl_b64 s[2:3], s[2:3], 4
	v_accvgpr_read_b32 v23, a11
	v_mul_f64 v[4:5], v[4:5], s[0:1]
	v_mul_f64 v[6:7], v[6:7], s[0:1]
	v_lshl_add_u64 v[8:9], v[8:9], 0, s[2:3]
	v_accvgpr_read_b32 v22, a10
	global_store_dwordx4 v[8:9], v[4:7], off
	ds_read_b128 v[4:7], v244 offset:8432
	v_accvgpr_read_b32 v21, a9
	v_accvgpr_read_b32 v20, a8
	s_waitcnt lgkmcnt(1)
	v_mul_f64 v[18:19], v[22:23], v[16:17]
	v_fmac_f64_e32 v[18:19], v[20:21], v[14:15]
	v_mul_f64 v[14:15], v[22:23], v[14:15]
	v_fma_f64 v[14:15], v[20:21], v[16:17], -v[14:15]
	v_mul_f64 v[18:19], v[18:19], s[0:1]
	v_mul_f64 v[20:21], v[14:15], s[0:1]
	v_lshl_add_u64 v[14:15], v[8:9], 0, s[2:3]
	global_store_dwordx4 v[14:15], v[18:21], off
	v_accvgpr_read_b32 v16, a32
	s_mul_hi_u32 s6, s4, 0xfffffe57
	v_accvgpr_read_b32 v18, a34
	v_accvgpr_read_b32 v19, a35
	s_mulk_i32 s5, 0xfe57
	s_sub_i32 s6, s6, s4
	v_accvgpr_read_b32 v17, a33
	v_mul_f64 v[8:9], v[18:19], v[12:13]
	s_add_i32 s5, s6, s5
	s_mulk_i32 s4, 0xfe57
	v_fmac_f64_e32 v[8:9], v[16:17], v[10:11]
	v_mul_f64 v[10:11], v[18:19], v[10:11]
	s_lshl_b64 s[6:7], s[4:5], 4
	v_fma_f64 v[10:11], v[16:17], v[12:13], -v[10:11]
	v_lshl_add_u64 v[12:13], v[14:15], 0, s[6:7]
	v_accvgpr_read_b32 v14, a44
	v_mul_f64 v[8:9], v[8:9], s[0:1]
	v_mul_f64 v[10:11], v[10:11], s[0:1]
	v_accvgpr_read_b32 v16, a46
	v_accvgpr_read_b32 v17, a47
	global_store_dwordx4 v[12:13], v[8:11], off
	v_accvgpr_read_b32 v15, a45
	v_lshl_add_u64 v[12:13], v[12:13], 0, s[2:3]
	v_mul_f64 v[8:9], v[16:17], v[2:3]
	v_fmac_f64_e32 v[8:9], v[14:15], v[0:1]
	v_mul_f64 v[0:1], v[16:17], v[0:1]
	v_fma_f64 v[0:1], v[14:15], v[2:3], -v[0:1]
	v_mul_f64 v[8:9], v[8:9], s[0:1]
	v_mul_f64 v[10:11], v[0:1], s[0:1]
	global_store_dwordx4 v[12:13], v[8:11], off
	v_accvgpr_read_b32 v14, a24
	v_lshl_add_u64 v[12:13], v[12:13], 0, s[2:3]
	v_accvgpr_read_b32 v8, a50
	v_accvgpr_read_b32 v10, a52
	;; [unrolled: 1-line block ×4, first 2 shown]
	s_waitcnt lgkmcnt(0)
	v_mul_f64 v[0:1], v[10:11], v[6:7]
	v_mul_f64 v[2:3], v[10:11], v[4:5]
	v_fmac_f64_e32 v[0:1], v[8:9], v[4:5]
	v_fma_f64 v[2:3], v[8:9], v[6:7], -v[2:3]
	ds_read_b128 v[4:7], v244 offset:1632
	v_mul_f64 v[0:1], v[0:1], s[0:1]
	v_mul_f64 v[2:3], v[2:3], s[0:1]
	v_accvgpr_read_b32 v16, a26
	v_accvgpr_read_b32 v17, a27
	global_store_dwordx4 v[12:13], v[0:3], off
	ds_read_b128 v[0:3], v244 offset:2448
	v_accvgpr_read_b32 v15, a25
	s_waitcnt lgkmcnt(1)
	v_mul_f64 v[8:9], v[16:17], v[6:7]
	v_fmac_f64_e32 v[8:9], v[14:15], v[4:5]
	v_mul_f64 v[4:5], v[16:17], v[4:5]
	v_fma_f64 v[10:11], v[14:15], v[6:7], -v[4:5]
	ds_read_b128 v[4:7], v244 offset:5440
	v_accvgpr_read_b32 v18, a20
	v_mul_f64 v[8:9], v[8:9], s[0:1]
	v_mul_f64 v[10:11], v[10:11], s[0:1]
	v_lshl_add_u64 v[16:17], v[12:13], 0, s[6:7]
	v_accvgpr_read_b32 v20, a22
	v_accvgpr_read_b32 v21, a23
	global_store_dwordx4 v[16:17], v[8:11], off
	ds_read_b128 v[8:11], v244 offset:6256
	v_accvgpr_read_b32 v19, a21
	s_waitcnt lgkmcnt(1)
	v_mul_f64 v[12:13], v[20:21], v[6:7]
	v_fmac_f64_e32 v[12:13], v[18:19], v[4:5]
	v_mul_f64 v[4:5], v[20:21], v[4:5]
	v_fma_f64 v[14:15], v[18:19], v[6:7], -v[4:5]
	ds_read_b128 v[4:7], v244 offset:9248
	v_accvgpr_read_b32 v25, a15
	v_mul_f64 v[12:13], v[12:13], s[0:1]
	v_mul_f64 v[14:15], v[14:15], s[0:1]
	v_lshl_add_u64 v[20:21], v[16:17], 0, s[2:3]
	v_accvgpr_read_b32 v24, a14
	global_store_dwordx4 v[20:21], v[12:15], off
	ds_read_b128 v[12:15], v244 offset:10064
	v_accvgpr_read_b32 v23, a13
	v_accvgpr_read_b32 v22, a12
	s_waitcnt lgkmcnt(1)
	v_mul_f64 v[16:17], v[24:25], v[6:7]
	v_fmac_f64_e32 v[16:17], v[22:23], v[4:5]
	v_mul_f64 v[4:5], v[24:25], v[4:5]
	v_fma_f64 v[4:5], v[22:23], v[6:7], -v[4:5]
	v_mul_f64 v[16:17], v[16:17], s[0:1]
	v_mul_f64 v[18:19], v[4:5], s[0:1]
	v_lshl_add_u64 v[20:21], v[20:21], 0, s[2:3]
	global_store_dwordx4 v[20:21], v[16:19], off
	s_nop 1
	v_accvgpr_read_b32 v16, a28
	v_accvgpr_read_b32 v18, a30
	;; [unrolled: 1-line block ×4, first 2 shown]
	v_mul_f64 v[4:5], v[18:19], v[2:3]
	v_fmac_f64_e32 v[4:5], v[16:17], v[0:1]
	v_mul_f64 v[0:1], v[18:19], v[0:1]
	v_fma_f64 v[0:1], v[16:17], v[2:3], -v[0:1]
	v_mul_f64 v[4:5], v[4:5], s[0:1]
	v_mul_f64 v[6:7], v[0:1], s[0:1]
	v_lshl_add_u64 v[16:17], v[20:21], 0, s[6:7]
	global_store_dwordx4 v[16:17], v[4:7], off
	s_nop 1
	v_accvgpr_read_b32 v4, a36
	v_accvgpr_read_b32 v6, a38
	;; [unrolled: 1-line block ×4, first 2 shown]
	v_mul_f64 v[0:1], v[6:7], v[10:11]
	v_mul_f64 v[2:3], v[6:7], v[8:9]
	v_fmac_f64_e32 v[0:1], v[4:5], v[8:9]
	v_fma_f64 v[2:3], v[4:5], v[10:11], -v[2:3]
	v_accvgpr_read_b32 v8, a40
	v_mul_f64 v[0:1], v[0:1], s[0:1]
	v_mul_f64 v[2:3], v[2:3], s[0:1]
	v_lshl_add_u64 v[6:7], v[16:17], 0, s[2:3]
	v_accvgpr_read_b32 v10, a42
	v_accvgpr_read_b32 v11, a43
	global_store_dwordx4 v[6:7], v[0:3], off
	v_accvgpr_read_b32 v9, a41
	s_waitcnt lgkmcnt(0)
	v_mul_f64 v[0:1], v[10:11], v[14:15]
	v_fmac_f64_e32 v[0:1], v[8:9], v[12:13]
	v_mul_f64 v[2:3], v[0:1], s[0:1]
	v_mul_f64 v[0:1], v[10:11], v[12:13]
	v_fma_f64 v[0:1], v[8:9], v[14:15], -v[0:1]
	v_mul_f64 v[4:5], v[0:1], s[0:1]
	v_lshl_add_u64 v[0:1], v[6:7], 0, s[2:3]
	global_store_dwordx4 v[0:1], v[2:5], off
	s_and_b64 exec, exec, vcc
	s_cbranch_execz .LBB0_23
; %bb.22:
	global_load_dwordx4 v[2:5], v[108:109], off offset:3264
	ds_read_b128 v[6:9], v244 offset:3264
	ds_read_b128 v[10:13], v244 offset:7072
	v_lshl_add_u64 v[14:15], s[4:5], 4, v[0:1]
	s_movk_i32 s4, 0x1000
	v_add_co_u32_e32 v16, vcc, s4, v108
	s_movk_i32 s4, 0x2000
	s_nop 0
	v_addc_co_u32_e32 v17, vcc, 0, v109, vcc
	s_waitcnt vmcnt(0) lgkmcnt(1)
	v_mul_f64 v[0:1], v[8:9], v[4:5]
	v_mul_f64 v[4:5], v[6:7], v[4:5]
	v_fmac_f64_e32 v[0:1], v[6:7], v[2:3]
	v_fma_f64 v[2:3], v[2:3], v[8:9], -v[4:5]
	v_mul_f64 v[0:1], v[0:1], s[0:1]
	v_mul_f64 v[2:3], v[2:3], s[0:1]
	global_store_dwordx4 v[14:15], v[0:3], off
	global_load_dwordx4 v[0:3], v[16:17], off offset:2976
	v_lshl_add_u64 v[8:9], v[14:15], 0, s[2:3]
	v_add_co_u32_e32 v4, vcc, s4, v108
	s_waitcnt vmcnt(0) lgkmcnt(0)
	v_mul_f64 v[6:7], v[12:13], v[2:3]
	v_mul_f64 v[2:3], v[10:11], v[2:3]
	v_fmac_f64_e32 v[6:7], v[10:11], v[0:1]
	v_fma_f64 v[2:3], v[0:1], v[12:13], -v[2:3]
	v_mul_f64 v[0:1], v[6:7], s[0:1]
	v_mul_f64 v[2:3], v[2:3], s[0:1]
	v_addc_co_u32_e32 v5, vcc, 0, v109, vcc
	global_store_dwordx4 v[8:9], v[0:3], off
	global_load_dwordx4 v[0:3], v[4:5], off offset:2688
	ds_read_b128 v[4:7], v244 offset:10880
	s_waitcnt vmcnt(0) lgkmcnt(0)
	v_mul_f64 v[10:11], v[6:7], v[2:3]
	v_mul_f64 v[2:3], v[4:5], v[2:3]
	v_fmac_f64_e32 v[10:11], v[4:5], v[0:1]
	v_fma_f64 v[2:3], v[0:1], v[6:7], -v[2:3]
	v_mul_f64 v[0:1], v[10:11], s[0:1]
	v_mul_f64 v[2:3], v[2:3], s[0:1]
	v_lshl_add_u64 v[4:5], v[8:9], 0, s[2:3]
	global_store_dwordx4 v[4:5], v[0:3], off
.LBB0_23:
	s_endpgm
	.section	.rodata,"a",@progbits
	.p2align	6, 0x0
	.amdhsa_kernel bluestein_single_fwd_len714_dim1_dp_op_CI_CI
		.amdhsa_group_segment_fixed_size 11424
		.amdhsa_private_segment_fixed_size 0
		.amdhsa_kernarg_size 104
		.amdhsa_user_sgpr_count 2
		.amdhsa_user_sgpr_dispatch_ptr 0
		.amdhsa_user_sgpr_queue_ptr 0
		.amdhsa_user_sgpr_kernarg_segment_ptr 1
		.amdhsa_user_sgpr_dispatch_id 0
		.amdhsa_user_sgpr_kernarg_preload_length 0
		.amdhsa_user_sgpr_kernarg_preload_offset 0
		.amdhsa_user_sgpr_private_segment_size 0
		.amdhsa_uses_dynamic_stack 0
		.amdhsa_enable_private_segment 0
		.amdhsa_system_sgpr_workgroup_id_x 1
		.amdhsa_system_sgpr_workgroup_id_y 0
		.amdhsa_system_sgpr_workgroup_id_z 0
		.amdhsa_system_sgpr_workgroup_info 0
		.amdhsa_system_vgpr_workitem_id 0
		.amdhsa_next_free_vgpr 430
		.amdhsa_next_free_sgpr 64
		.amdhsa_accum_offset 256
		.amdhsa_reserve_vcc 1
		.amdhsa_float_round_mode_32 0
		.amdhsa_float_round_mode_16_64 0
		.amdhsa_float_denorm_mode_32 3
		.amdhsa_float_denorm_mode_16_64 3
		.amdhsa_dx10_clamp 1
		.amdhsa_ieee_mode 1
		.amdhsa_fp16_overflow 0
		.amdhsa_tg_split 0
		.amdhsa_exception_fp_ieee_invalid_op 0
		.amdhsa_exception_fp_denorm_src 0
		.amdhsa_exception_fp_ieee_div_zero 0
		.amdhsa_exception_fp_ieee_overflow 0
		.amdhsa_exception_fp_ieee_underflow 0
		.amdhsa_exception_fp_ieee_inexact 0
		.amdhsa_exception_int_div_zero 0
	.end_amdhsa_kernel
	.text
.Lfunc_end0:
	.size	bluestein_single_fwd_len714_dim1_dp_op_CI_CI, .Lfunc_end0-bluestein_single_fwd_len714_dim1_dp_op_CI_CI
                                        ; -- End function
	.section	.AMDGPU.csdata,"",@progbits
; Kernel info:
; codeLenInByte = 27764
; NumSgprs: 70
; NumVgprs: 256
; NumAgprs: 174
; TotalNumVgprs: 430
; ScratchSize: 0
; MemoryBound: 0
; FloatMode: 240
; IeeeMode: 1
; LDSByteSize: 11424 bytes/workgroup (compile time only)
; SGPRBlocks: 8
; VGPRBlocks: 53
; NumSGPRsForWavesPerEU: 70
; NumVGPRsForWavesPerEU: 430
; AccumOffset: 256
; Occupancy: 1
; WaveLimiterHint : 1
; COMPUTE_PGM_RSRC2:SCRATCH_EN: 0
; COMPUTE_PGM_RSRC2:USER_SGPR: 2
; COMPUTE_PGM_RSRC2:TRAP_HANDLER: 0
; COMPUTE_PGM_RSRC2:TGID_X_EN: 1
; COMPUTE_PGM_RSRC2:TGID_Y_EN: 0
; COMPUTE_PGM_RSRC2:TGID_Z_EN: 0
; COMPUTE_PGM_RSRC2:TIDIG_COMP_CNT: 0
; COMPUTE_PGM_RSRC3_GFX90A:ACCUM_OFFSET: 63
; COMPUTE_PGM_RSRC3_GFX90A:TG_SPLIT: 0
	.text
	.p2alignl 6, 3212836864
	.fill 256, 4, 3212836864
	.type	__hip_cuid_a7d04716e8d1a79d,@object ; @__hip_cuid_a7d04716e8d1a79d
	.section	.bss,"aw",@nobits
	.globl	__hip_cuid_a7d04716e8d1a79d
__hip_cuid_a7d04716e8d1a79d:
	.byte	0                               ; 0x0
	.size	__hip_cuid_a7d04716e8d1a79d, 1

	.ident	"AMD clang version 19.0.0git (https://github.com/RadeonOpenCompute/llvm-project roc-6.4.0 25133 c7fe45cf4b819c5991fe208aaa96edf142730f1d)"
	.section	".note.GNU-stack","",@progbits
	.addrsig
	.addrsig_sym __hip_cuid_a7d04716e8d1a79d
	.amdgpu_metadata
---
amdhsa.kernels:
  - .agpr_count:     174
    .args:
      - .actual_access:  read_only
        .address_space:  global
        .offset:         0
        .size:           8
        .value_kind:     global_buffer
      - .actual_access:  read_only
        .address_space:  global
        .offset:         8
        .size:           8
        .value_kind:     global_buffer
      - .actual_access:  read_only
        .address_space:  global
        .offset:         16
        .size:           8
        .value_kind:     global_buffer
      - .actual_access:  read_only
        .address_space:  global
        .offset:         24
        .size:           8
        .value_kind:     global_buffer
      - .actual_access:  read_only
        .address_space:  global
        .offset:         32
        .size:           8
        .value_kind:     global_buffer
      - .offset:         40
        .size:           8
        .value_kind:     by_value
      - .address_space:  global
        .offset:         48
        .size:           8
        .value_kind:     global_buffer
      - .address_space:  global
        .offset:         56
        .size:           8
        .value_kind:     global_buffer
      - .address_space:  global
        .offset:         64
        .size:           8
        .value_kind:     global_buffer
      - .address_space:  global
        .offset:         72
        .size:           8
        .value_kind:     global_buffer
      - .offset:         80
        .size:           4
        .value_kind:     by_value
      - .address_space:  global
        .offset:         88
        .size:           8
        .value_kind:     global_buffer
      - .address_space:  global
        .offset:         96
        .size:           8
        .value_kind:     global_buffer
    .group_segment_fixed_size: 11424
    .kernarg_segment_align: 8
    .kernarg_segment_size: 104
    .language:       OpenCL C
    .language_version:
      - 2
      - 0
    .max_flat_workgroup_size: 51
    .name:           bluestein_single_fwd_len714_dim1_dp_op_CI_CI
    .private_segment_fixed_size: 0
    .sgpr_count:     70
    .sgpr_spill_count: 0
    .symbol:         bluestein_single_fwd_len714_dim1_dp_op_CI_CI.kd
    .uniform_work_group_size: 1
    .uses_dynamic_stack: false
    .vgpr_count:     430
    .vgpr_spill_count: 0
    .wavefront_size: 64
amdhsa.target:   amdgcn-amd-amdhsa--gfx950
amdhsa.version:
  - 1
  - 2
...

	.end_amdgpu_metadata
